;; amdgpu-corpus repo=ROCm/rocFFT kind=compiled arch=gfx950 opt=O3
	.text
	.amdgcn_target "amdgcn-amd-amdhsa--gfx950"
	.amdhsa_code_object_version 6
	.protected	bluestein_single_back_len1875_dim1_dp_op_CI_CI ; -- Begin function bluestein_single_back_len1875_dim1_dp_op_CI_CI
	.globl	bluestein_single_back_len1875_dim1_dp_op_CI_CI
	.p2align	8
	.type	bluestein_single_back_len1875_dim1_dp_op_CI_CI,@function
bluestein_single_back_len1875_dim1_dp_op_CI_CI: ; @bluestein_single_back_len1875_dim1_dp_op_CI_CI
; %bb.0:
	s_load_dwordx4 s[12:15], s[0:1], 0x28
	v_mul_u32_u24_e32 v1, 0x20d, v0
	v_lshrrev_b32_e32 v1, 16, v1
	v_lshl_add_u32 v104, s2, 1, v1
	v_mov_b32_e32 v105, 0
	s_waitcnt lgkmcnt(0)
	v_cmp_gt_u64_e32 vcc, s[12:13], v[104:105]
	s_and_saveexec_b64 s[2:3], vcc
	s_cbranch_execz .LBB0_2
; %bb.1:
	s_load_dwordx4 s[4:7], s[0:1], 0x0
	s_load_dwordx4 s[8:11], s[0:1], 0x18
	s_load_dwordx2 s[2:3], s[0:1], 0x38
	v_mov_b32_e32 v2, s14
	v_mov_b32_e32 v3, s15
	;; [unrolled: 1-line block ×3, first 2 shown]
	s_movk_i32 s16, 0x2000
	s_waitcnt lgkmcnt(0)
	v_mov_b32_e32 v4, s2
	v_mov_b32_e32 v5, s3
	s_load_dwordx4 s[0:3], s[10:11], 0x0
	v_accvgpr_write_b32 a4, v4
	v_accvgpr_write_b32 a5, v5
	v_and_b32_e32 v4, 1, v1
	v_cmp_eq_u32_e32 vcc, 1, v4
	s_waitcnt lgkmcnt(0)
	v_mad_u64_u32 v[6:7], s[10:11], s2, v104, 0
	s_load_dwordx4 s[8:11], s[8:9], 0x0
	v_mov_b32_e32 v4, 0x7530
	v_cndmask_b32_e32 v242, 0, v4, vcc
	v_mov_b32_e32 v4, v7
	v_mad_u64_u32 v[4:5], s[2:3], s3, v104, v[4:5]
	v_mov_b32_e32 v7, v4
	v_accvgpr_write_b32 a11, v7
	s_waitcnt lgkmcnt(0)
	v_mad_u64_u32 v[4:5], s[2:3], s10, v104, 0
	v_mul_lo_u16_e32 v1, 0x7d, v1
	v_accvgpr_write_b32 a10, v6
	v_mov_b32_e32 v6, v5
	v_sub_u16_e32 v52, v0, v1
	v_mad_u64_u32 v[6:7], s[2:3], s11, v104, v[6:7]
	v_mad_u64_u32 v[0:1], s[2:3], s8, v52, 0
	v_mov_b32_e32 v5, v6
	v_mov_b32_e32 v6, v1
	v_mad_u64_u32 v[6:7], s[2:3], s9, v52, v[6:7]
	v_mov_b32_e32 v1, v6
	v_lshl_add_u64 v[2:3], v[4:5], 4, v[2:3]
	v_lshl_add_u64 v[8:9], v[0:1], 4, v[2:3]
	v_lshlrev_b32_e32 v104, 4, v52
	global_load_dwordx4 v[0:3], v[8:9], off
	global_load_dwordx4 v[10:13], v104, s[4:5]
	v_lshl_add_u64 v[50:51], s[4:5], 0, v[104:105]
	v_add_u32_e32 v48, v242, v104
	s_mov_b32 s12, 0
	v_mov_b32_e32 v53, s12
	s_mov_b32 s13, 0xbfee6f0e
	s_movk_i32 s15, 0xcd
	s_movk_i32 s14, 0x7d
	v_lshlrev_b32_e32 v106, 5, v52
	v_mov_b32_e32 v107, v105
	s_waitcnt vmcnt(0)
	v_accvgpr_write_b32 a31, v13
	v_mul_f64 v[4:5], v[2:3], v[12:13]
	v_fmac_f64_e32 v[4:5], v[0:1], v[10:11]
	v_mul_f64 v[0:1], v[0:1], v[12:13]
	v_fma_f64 v[6:7], v[2:3], v[10:11], -v[0:1]
	v_accvgpr_write_b32 a30, v12
	v_accvgpr_write_b32 a29, v11
	;; [unrolled: 1-line block ×3, first 2 shown]
	v_mad_u64_u32 v[10:11], s[2:3], s8, v49, v[8:9]
	s_movk_i32 s3, 0x1000
	ds_write_b128 v48, v[4:7]
	s_mul_i32 s2, s9, 0x1770
	v_add_co_u32_e32 v4, vcc, s3, v50
	v_add_u32_e32 v11, s2, v11
	s_nop 0
	v_addc_co_u32_e32 v5, vcc, 0, v51, vcc
	global_load_dwordx4 v[0:3], v[10:11], off
	global_load_dwordx4 v[12:15], v[4:5], off offset:1904
	s_movk_i32 s3, 0x4000
	s_waitcnt vmcnt(0)
	v_mul_f64 v[6:7], v[2:3], v[14:15]
	v_fmac_f64_e32 v[6:7], v[0:1], v[12:13]
	v_mul_f64 v[0:1], v[0:1], v[14:15]
	v_fma_f64 v[8:9], v[2:3], v[12:13], -v[0:1]
	v_mad_u64_u32 v[2:3], s[10:11], s8, v49, v[10:11]
	v_add_co_u32_e32 v0, vcc, s16, v50
	v_accvgpr_write_b32 a39, v15
	v_add_u32_e32 v3, s2, v3
	v_addc_co_u32_e32 v1, vcc, 0, v51, vcc
	v_accvgpr_write_b32 a38, v14
	v_accvgpr_write_b32 a37, v13
	;; [unrolled: 1-line block ×3, first 2 shown]
	ds_write_b128 v48, v[6:9] offset:6000
	global_load_dwordx4 v[6:9], v[2:3], off
	global_load_dwordx4 v[14:17], v[0:1], off offset:3808
	v_mad_u64_u32 v[2:3], s[10:11], s8, v49, v[2:3]
	v_add_u32_e32 v3, s2, v3
	s_waitcnt vmcnt(0)
	v_mul_f64 v[10:11], v[8:9], v[16:17]
	v_fmac_f64_e32 v[10:11], v[6:7], v[14:15]
	v_mul_f64 v[6:7], v[6:7], v[16:17]
	v_accvgpr_write_b32 a51, v17
	v_fma_f64 v[12:13], v[8:9], v[14:15], -v[6:7]
	v_accvgpr_write_b32 a50, v16
	v_accvgpr_write_b32 a49, v15
	;; [unrolled: 1-line block ×3, first 2 shown]
	v_add_co_u32_e32 v14, vcc, s3, v50
	global_load_dwordx4 v[6:9], v[2:3], off
	s_nop 0
	v_addc_co_u32_e32 v15, vcc, 0, v51, vcc
	global_load_dwordx4 v[16:19], v[14:15], off offset:1616
	ds_write_b128 v48, v[10:13] offset:12000
	s_movk_i32 s3, 0x5000
	s_waitcnt vmcnt(0)
	v_mul_f64 v[10:11], v[8:9], v[18:19]
	v_fmac_f64_e32 v[10:11], v[6:7], v[16:17]
	v_mul_f64 v[6:7], v[6:7], v[18:19]
	v_accvgpr_write_b32 a59, v19
	v_fma_f64 v[12:13], v[8:9], v[16:17], -v[6:7]
	v_accvgpr_write_b32 a58, v18
	v_accvgpr_write_b32 a57, v17
	;; [unrolled: 1-line block ×3, first 2 shown]
	v_mad_u64_u32 v[16:17], s[10:11], s8, v49, v[2:3]
	v_add_co_u32_e32 v2, vcc, s3, v50
	v_add_u32_e32 v17, s2, v17
	s_nop 0
	v_addc_co_u32_e32 v3, vcc, 0, v51, vcc
	global_load_dwordx4 v[6:9], v[16:17], off
	global_load_dwordx4 v[18:21], v[2:3], off offset:3520
	ds_write_b128 v48, v[10:13] offset:18000
	s_mov_b64 s[10:11], 0x7d
	s_mul_i32 s3, s9, 0xffffaa10
	v_lshl_add_u64 v[248:249], v[52:53], 0, s[10:11]
	s_sub_i32 s3, s3, s8
	s_movk_i32 s9, 0x3000
	v_mul_lo_u16_sdwa v56, v248, s15 dst_sel:DWORD dst_unused:UNUSED_PAD src0_sel:BYTE_0 src1_sel:DWORD
	v_lshrrev_b16_e32 v89, 10, v56
	v_mul_lo_u16_e32 v56, 5, v89
	v_sub_u16_e32 v90, v248, v56
	s_waitcnt vmcnt(0)
	v_mul_f64 v[10:11], v[8:9], v[20:21]
	v_fmac_f64_e32 v[10:11], v[6:7], v[18:19]
	v_mul_f64 v[6:7], v[6:7], v[20:21]
	v_fma_f64 v[12:13], v[8:9], v[18:19], -v[6:7]
	v_mov_b32_e32 v6, 0xffffaa10
	v_mad_u64_u32 v[16:17], s[10:11], s8, v6, v[16:17]
	v_accvgpr_write_b32 a63, v21
	ds_write_b128 v48, v[10:13] offset:24000
	v_add_u32_e32 v17, s3, v17
	v_accvgpr_write_b32 a62, v20
	v_accvgpr_write_b32 a61, v19
	;; [unrolled: 1-line block ×3, first 2 shown]
	global_load_dwordx4 v[6:9], v[16:17], off
	global_load_dwordx4 v[20:23], v104, s[4:5] offset:2000
	v_mov_b32_e32 v18, 0xffffaa10
	s_waitcnt vmcnt(0)
	v_mul_f64 v[10:11], v[8:9], v[22:23]
	v_fmac_f64_e32 v[10:11], v[6:7], v[20:21]
	v_mul_f64 v[6:7], v[6:7], v[22:23]
	v_fma_f64 v[12:13], v[8:9], v[20:21], -v[6:7]
	ds_write_b128 v48, v[10:13] offset:2000
	v_mad_u64_u32 v[10:11], s[10:11], s8, v49, v[16:17]
	v_accvgpr_write_b32 a20, v20
	v_add_u32_e32 v11, s2, v11
	v_accvgpr_write_b32 a21, v21
	v_accvgpr_write_b32 a22, v22
	;; [unrolled: 1-line block ×3, first 2 shown]
	global_load_dwordx4 v[6:9], v[10:11], off
	global_load_dwordx4 v[20:23], v[4:5], off offset:3904
	v_mad_u64_u32 v[12:13], s[10:11], s8, v49, v[10:11]
	v_add_co_u32_e32 v16, vcc, s9, v50
	v_add_u32_e32 v13, s2, v13
	s_nop 0
	v_addc_co_u32_e32 v17, vcc, 0, v51, vcc
	s_movk_i32 s9, 0x6000
	s_waitcnt vmcnt(0)
	v_mul_f64 v[4:5], v[8:9], v[22:23]
	v_fmac_f64_e32 v[4:5], v[6:7], v[20:21]
	v_mul_f64 v[6:7], v[6:7], v[22:23]
	v_fma_f64 v[6:7], v[8:9], v[20:21], -v[6:7]
	v_accvgpr_write_b32 a35, v23
	v_accvgpr_write_b32 a34, v22
	;; [unrolled: 1-line block ×4, first 2 shown]
	ds_write_b128 v48, v[4:7] offset:8000
	global_load_dwordx4 v[4:7], v[12:13], off
	global_load_dwordx4 v[20:23], v[16:17], off offset:1712
	v_mad_u64_u32 v[12:13], s[10:11], s8, v49, v[12:13]
	v_add_u32_e32 v13, s2, v13
	s_waitcnt vmcnt(0)
	v_mul_f64 v[8:9], v[6:7], v[22:23]
	v_fmac_f64_e32 v[8:9], v[4:5], v[20:21]
	v_mul_f64 v[4:5], v[4:5], v[22:23]
	v_fma_f64 v[10:11], v[6:7], v[20:21], -v[4:5]
	v_accvgpr_write_b32 a43, v23
	ds_write_b128 v48, v[8:11] offset:14000
	v_accvgpr_write_b32 a42, v22
	v_accvgpr_write_b32 a41, v21
	;; [unrolled: 1-line block ×3, first 2 shown]
	global_load_dwordx4 v[4:7], v[12:13], off
	global_load_dwordx4 v[20:23], v[14:15], off offset:3616
	v_mad_u64_u32 v[12:13], s[10:11], s8, v49, v[12:13]
	v_add_co_u32_e32 v14, vcc, s9, v50
	v_add_u32_e32 v13, s2, v13
	s_nop 0
	v_addc_co_u32_e32 v15, vcc, 0, v51, vcc
	s_mov_b64 s[10:11], 0xfa
	v_lshl_add_u64 v[250:251], v[52:53], 0, s[10:11]
	v_mov_b32_e32 v53, 6
	v_lshlrev_b32_sdwa v56, v53, v90 dst_sel:DWORD dst_unused:UNUSED_PAD src0_sel:DWORD src1_sel:BYTE_0
	s_waitcnt vmcnt(0)
	v_mul_f64 v[8:9], v[6:7], v[22:23]
	v_fmac_f64_e32 v[8:9], v[4:5], v[20:21]
	v_mul_f64 v[4:5], v[4:5], v[22:23]
	v_accvgpr_write_b32 a47, v23
	v_fma_f64 v[10:11], v[6:7], v[20:21], -v[4:5]
	v_accvgpr_write_b32 a46, v22
	v_accvgpr_write_b32 a45, v21
	;; [unrolled: 1-line block ×3, first 2 shown]
	global_load_dwordx4 v[4:7], v[12:13], off
	global_load_dwordx4 v[20:23], v[14:15], off offset:1424
	ds_write_b128 v48, v[8:11] offset:20000
	v_mad_u64_u32 v[12:13], s[10:11], s8, v18, v[12:13]
	v_add_u32_e32 v13, s3, v13
	s_mov_b32 s11, 0xbfe2cf23
	s_waitcnt vmcnt(0)
	v_mul_f64 v[8:9], v[6:7], v[22:23]
	v_fmac_f64_e32 v[8:9], v[4:5], v[20:21]
	v_mul_f64 v[4:5], v[4:5], v[22:23]
	v_fma_f64 v[10:11], v[6:7], v[20:21], -v[4:5]
	v_accvgpr_write_b32 a55, v23
	ds_write_b128 v48, v[8:11] offset:26000
	v_accvgpr_write_b32 a54, v22
	v_accvgpr_write_b32 a53, v21
	;; [unrolled: 1-line block ×3, first 2 shown]
	global_load_dwordx4 v[4:7], v[12:13], off
	global_load_dwordx4 v[18:21], v104, s[4:5] offset:4000
	v_mad_u64_u32 v[12:13], s[4:5], s8, v49, v[12:13]
	v_add_u32_e32 v13, s2, v13
	s_waitcnt vmcnt(0)
	v_mul_f64 v[8:9], v[6:7], v[20:21]
	v_fmac_f64_e32 v[8:9], v[4:5], v[18:19]
	v_mul_f64 v[4:5], v[4:5], v[20:21]
	v_fma_f64 v[10:11], v[6:7], v[18:19], -v[4:5]
	v_accvgpr_write_b32 a16, v18
	ds_write_b128 v48, v[8:11] offset:4000
	v_accvgpr_write_b32 a17, v19
	v_accvgpr_write_b32 a18, v20
	;; [unrolled: 1-line block ×3, first 2 shown]
	global_load_dwordx4 v[4:7], v[12:13], off
	global_load_dwordx4 v[18:21], v[0:1], off offset:1808
	s_waitcnt vmcnt(0)
	v_mul_f64 v[8:9], v[6:7], v[20:21]
	v_mul_f64 v[0:1], v[4:5], v[20:21]
	v_fmac_f64_e32 v[8:9], v[4:5], v[18:19]
	v_fma_f64 v[10:11], v[6:7], v[18:19], -v[0:1]
	v_mad_u64_u32 v[0:1], s[4:5], s8, v49, v[12:13]
	v_accvgpr_write_b32 a27, v21
	ds_write_b128 v48, v[8:11] offset:10000
	v_add_u32_e32 v1, s2, v1
	v_accvgpr_write_b32 a26, v20
	v_accvgpr_write_b32 a25, v19
	;; [unrolled: 1-line block ×3, first 2 shown]
	global_load_dwordx4 v[4:7], v[0:1], off
	global_load_dwordx4 v[18:21], v[16:17], off offset:3712
	s_waitcnt vmcnt(0)
	v_mul_f64 v[8:9], v[6:7], v[20:21]
	v_fmac_f64_e32 v[8:9], v[4:5], v[18:19]
	v_mul_f64 v[4:5], v[4:5], v[20:21]
	v_fma_f64 v[10:11], v[6:7], v[18:19], -v[4:5]
	ds_write_b128 v48, v[8:11] offset:16000
	v_mad_u64_u32 v[8:9], s[4:5], s8, v49, v[0:1]
	v_add_u32_e32 v9, s2, v9
	global_load_dwordx4 v[4:7], v[8:9], off
	global_load_dwordx4 v[10:13], v[2:3], off offset:1520
	v_accvgpr_write_b32 a6, v18
	v_accvgpr_write_b32 a7, v19
	;; [unrolled: 1-line block ×4, first 2 shown]
	s_waitcnt vmcnt(0)
	v_mul_f64 v[0:1], v[6:7], v[12:13]
	v_mul_f64 v[2:3], v[4:5], v[12:13]
	v_fmac_f64_e32 v[0:1], v[4:5], v[10:11]
	v_fma_f64 v[2:3], v[6:7], v[10:11], -v[2:3]
	v_mad_u64_u32 v[4:5], s[4:5], s8, v49, v[8:9]
	ds_write_b128 v48, v[0:3] offset:22000
	v_add_u32_e32 v5, s2, v5
	global_load_dwordx4 v[0:3], v[4:5], off
	global_load_dwordx4 v[6:9], v[14:15], off offset:3424
	v_accvgpr_write_b32 a0, v10
	v_accvgpr_write_b32 a1, v11
	;; [unrolled: 1-line block ×4, first 2 shown]
	s_mov_b32 s2, 0x134454ff
	s_mov_b32 s3, 0x3fee6f0e
	;; [unrolled: 1-line block ×8, first 2 shown]
	s_waitcnt vmcnt(0)
	v_mov_b64_e32 v[10:11], v[8:9]
	v_mov_b64_e32 v[8:9], v[6:7]
	v_mul_f64 v[4:5], v[2:3], v[10:11]
	v_fmac_f64_e32 v[4:5], v[0:1], v[8:9]
	v_mul_f64 v[0:1], v[0:1], v[10:11]
	v_fma_f64 v[6:7], v[2:3], v[8:9], -v[0:1]
	v_accvgpr_write_b32 a15, v11
	v_accvgpr_write_b32 a14, v10
	;; [unrolled: 1-line block ×4, first 2 shown]
	ds_write_b128 v48, v[4:7] offset:28000
	s_waitcnt lgkmcnt(0)
	s_barrier
	ds_read_b128 v[0:3], v48
	ds_read_b128 v[72:75], v48 offset:6000
	ds_read_b128 v[76:79], v48 offset:12000
	;; [unrolled: 1-line block ×14, first 2 shown]
	s_waitcnt lgkmcnt(13)
	v_add_f64 v[16:17], v[0:1], v[72:73]
	s_waitcnt lgkmcnt(12)
	v_add_f64 v[16:17], v[16:17], v[76:77]
	;; [unrolled: 2-line block ×4, first 2 shown]
	v_add_f64 v[16:17], v[76:77], v[80:81]
	v_fma_f64 v[16:17], -0.5, v[16:17], v[0:1]
	v_add_f64 v[18:19], v[74:75], -v[86:87]
	v_fma_f64 v[32:33], s[2:3], v[18:19], v[16:17]
	v_add_f64 v[26:27], v[78:79], -v[82:83]
	v_add_f64 v[34:35], v[72:73], -v[76:77]
	;; [unrolled: 1-line block ×3, first 2 shown]
	v_fmac_f64_e32 v[16:17], s[12:13], v[18:19]
	v_fmac_f64_e32 v[32:33], s[8:9], v[26:27]
	v_add_f64 v[34:35], v[34:35], v[54:55]
	v_fmac_f64_e32 v[16:17], s[10:11], v[26:27]
	v_fmac_f64_e32 v[32:33], s[4:5], v[34:35]
	;; [unrolled: 1-line block ×3, first 2 shown]
	v_add_f64 v[34:35], v[72:73], v[84:85]
	v_fmac_f64_e32 v[0:1], -0.5, v[34:35]
	v_fma_f64 v[64:65], s[12:13], v[26:27], v[0:1]
	v_fmac_f64_e32 v[0:1], s[2:3], v[26:27]
	v_fmac_f64_e32 v[64:65], s[8:9], v[18:19]
	v_fmac_f64_e32 v[0:1], s[10:11], v[18:19]
	v_add_f64 v[18:19], v[2:3], v[74:75]
	v_add_f64 v[18:19], v[18:19], v[78:79]
	;; [unrolled: 1-line block ×3, first 2 shown]
	v_add_f64 v[34:35], v[76:77], -v[72:73]
	v_add_f64 v[54:55], v[80:81], -v[84:85]
	v_add_f64 v[26:27], v[18:19], v[86:87]
	v_add_f64 v[18:19], v[78:79], v[82:83]
	;; [unrolled: 1-line block ×3, first 2 shown]
	v_fma_f64 v[18:19], -0.5, v[18:19], v[2:3]
	v_add_f64 v[54:55], v[72:73], -v[84:85]
	v_fmac_f64_e32 v[64:65], s[4:5], v[34:35]
	v_fmac_f64_e32 v[0:1], s[4:5], v[34:35]
	v_fma_f64 v[34:35], s[12:13], v[54:55], v[18:19]
	v_add_f64 v[72:73], v[76:77], -v[80:81]
	v_add_f64 v[66:67], v[74:75], -v[78:79]
	;; [unrolled: 1-line block ×3, first 2 shown]
	v_fmac_f64_e32 v[18:19], s[2:3], v[54:55]
	v_fmac_f64_e32 v[34:35], s[10:11], v[72:73]
	v_add_f64 v[66:67], v[66:67], v[76:77]
	v_fmac_f64_e32 v[18:19], s[8:9], v[72:73]
	v_fmac_f64_e32 v[34:35], s[4:5], v[66:67]
	v_fmac_f64_e32 v[18:19], s[4:5], v[66:67]
	v_add_f64 v[66:67], v[74:75], v[86:87]
	v_fmac_f64_e32 v[2:3], -0.5, v[66:67]
	v_fma_f64 v[66:67], s[2:3], v[72:73], v[2:3]
	v_fmac_f64_e32 v[2:3], s[12:13], v[72:73]
	v_fmac_f64_e32 v[66:67], s[10:11], v[54:55]
	;; [unrolled: 1-line block ×3, first 2 shown]
	s_waitcnt lgkmcnt(8)
	v_add_f64 v[54:55], v[4:5], v[40:41]
	s_waitcnt lgkmcnt(7)
	v_add_f64 v[54:55], v[54:55], v[44:45]
	;; [unrolled: 2-line block ×3, first 2 shown]
	v_add_f64 v[74:75], v[78:79], -v[74:75]
	v_add_f64 v[76:77], v[82:83], -v[86:87]
	s_waitcnt lgkmcnt(5)
	v_add_f64 v[72:73], v[54:55], v[68:69]
	v_add_f64 v[54:55], v[44:45], v[60:61]
	v_add_f64 v[74:75], v[74:75], v[76:77]
	v_fma_f64 v[76:77], -0.5, v[54:55], v[4:5]
	v_add_f64 v[54:55], v[42:43], -v[70:71]
	v_fmac_f64_e32 v[66:67], s[4:5], v[74:75]
	v_fmac_f64_e32 v[2:3], s[4:5], v[74:75]
	v_fma_f64 v[80:81], s[2:3], v[54:55], v[76:77]
	v_add_f64 v[74:75], v[46:47], -v[62:63]
	v_add_f64 v[78:79], v[40:41], -v[44:45]
	;; [unrolled: 1-line block ×3, first 2 shown]
	v_fmac_f64_e32 v[76:77], s[12:13], v[54:55]
	v_fmac_f64_e32 v[80:81], s[8:9], v[74:75]
	v_add_f64 v[78:79], v[78:79], v[82:83]
	v_fmac_f64_e32 v[76:77], s[10:11], v[74:75]
	v_fmac_f64_e32 v[80:81], s[4:5], v[78:79]
	;; [unrolled: 1-line block ×3, first 2 shown]
	v_add_f64 v[78:79], v[40:41], v[68:69]
	v_fmac_f64_e32 v[4:5], -0.5, v[78:79]
	v_fma_f64 v[84:85], s[12:13], v[74:75], v[4:5]
	v_fmac_f64_e32 v[4:5], s[2:3], v[74:75]
	v_fmac_f64_e32 v[84:85], s[8:9], v[54:55]
	v_fmac_f64_e32 v[4:5], s[10:11], v[54:55]
	v_add_f64 v[54:55], v[6:7], v[42:43]
	v_add_f64 v[54:55], v[54:55], v[46:47]
	v_add_f64 v[78:79], v[44:45], -v[40:41]
	v_add_f64 v[82:83], v[60:61], -v[68:69]
	v_add_f64 v[54:55], v[54:55], v[62:63]
	v_add_f64 v[78:79], v[78:79], v[82:83]
	;; [unrolled: 1-line block ×4, first 2 shown]
	v_fmac_f64_e32 v[84:85], s[4:5], v[78:79]
	v_fmac_f64_e32 v[4:5], s[4:5], v[78:79]
	v_fma_f64 v[78:79], -0.5, v[54:55], v[6:7]
	v_add_f64 v[40:41], v[40:41], -v[68:69]
	v_fma_f64 v[82:83], s[12:13], v[40:41], v[78:79]
	v_add_f64 v[44:45], v[44:45], -v[60:61]
	v_add_f64 v[54:55], v[42:43], -v[46:47]
	;; [unrolled: 1-line block ×3, first 2 shown]
	v_fmac_f64_e32 v[78:79], s[2:3], v[40:41]
	v_fmac_f64_e32 v[82:83], s[10:11], v[44:45]
	v_add_f64 v[54:55], v[54:55], v[60:61]
	v_fmac_f64_e32 v[78:79], s[8:9], v[44:45]
	v_fmac_f64_e32 v[82:83], s[4:5], v[54:55]
	v_fmac_f64_e32 v[78:79], s[4:5], v[54:55]
	v_add_f64 v[54:55], v[42:43], v[70:71]
	v_fmac_f64_e32 v[6:7], -0.5, v[54:55]
	v_fma_f64 v[86:87], s[2:3], v[44:45], v[6:7]
	v_add_f64 v[42:43], v[46:47], -v[42:43]
	v_add_f64 v[46:47], v[62:63], -v[70:71]
	v_fmac_f64_e32 v[6:7], s[12:13], v[44:45]
	v_fmac_f64_e32 v[86:87], s[10:11], v[40:41]
	v_add_f64 v[42:43], v[42:43], v[46:47]
	v_fmac_f64_e32 v[6:7], s[8:9], v[40:41]
	v_fmac_f64_e32 v[86:87], s[4:5], v[42:43]
	;; [unrolled: 1-line block ×3, first 2 shown]
	s_waitcnt lgkmcnt(1)
	v_add_f64 v[42:43], v[20:21], v[28:29]
	v_fma_f64 v[44:45], -0.5, v[42:43], v[8:9]
	s_waitcnt lgkmcnt(0)
	v_add_f64 v[42:43], v[14:15], -v[38:39]
	v_fma_f64 v[60:61], s[2:3], v[42:43], v[44:45]
	v_add_f64 v[46:47], v[22:23], -v[30:31]
	v_add_f64 v[54:55], v[12:13], -v[20:21]
	;; [unrolled: 1-line block ×3, first 2 shown]
	v_fmac_f64_e32 v[44:45], s[12:13], v[42:43]
	v_fmac_f64_e32 v[60:61], s[8:9], v[46:47]
	v_add_f64 v[54:55], v[54:55], v[62:63]
	v_fmac_f64_e32 v[44:45], s[10:11], v[46:47]
	v_fmac_f64_e32 v[60:61], s[4:5], v[54:55]
	;; [unrolled: 1-line block ×3, first 2 shown]
	v_add_f64 v[54:55], v[12:13], v[36:37]
	v_add_f64 v[40:41], v[8:9], v[12:13]
	v_fmac_f64_e32 v[8:9], -0.5, v[54:55]
	v_add_f64 v[40:41], v[40:41], v[20:21]
	v_fma_f64 v[68:69], s[12:13], v[46:47], v[8:9]
	v_fmac_f64_e32 v[8:9], s[2:3], v[46:47]
	v_add_f64 v[46:47], v[22:23], v[30:31]
	v_add_f64 v[40:41], v[40:41], v[28:29]
	v_add_f64 v[54:55], v[20:21], -v[12:13]
	v_add_f64 v[62:63], v[28:29], -v[36:37]
	v_fma_f64 v[46:47], -0.5, v[46:47], v[10:11]
	v_add_f64 v[12:13], v[12:13], -v[36:37]
	v_add_f64 v[40:41], v[40:41], v[36:37]
	v_add_f64 v[54:55], v[54:55], v[62:63]
	v_fma_f64 v[62:63], s[12:13], v[12:13], v[46:47]
	v_add_f64 v[20:21], v[20:21], -v[28:29]
	v_add_f64 v[28:29], v[14:15], -v[22:23]
	v_add_f64 v[36:37], v[38:39], -v[30:31]
	v_fmac_f64_e32 v[46:47], s[2:3], v[12:13]
	v_fmac_f64_e32 v[62:63], s[10:11], v[20:21]
	v_add_f64 v[28:29], v[28:29], v[36:37]
	v_fmac_f64_e32 v[46:47], s[8:9], v[20:21]
	v_fmac_f64_e32 v[62:63], s[4:5], v[28:29]
	;; [unrolled: 1-line block ×3, first 2 shown]
	v_add_f64 v[28:29], v[14:15], v[38:39]
	v_fmac_f64_e32 v[68:69], s[8:9], v[42:43]
	v_fmac_f64_e32 v[8:9], s[10:11], v[42:43]
	v_add_f64 v[42:43], v[10:11], v[14:15]
	v_fmac_f64_e32 v[10:11], -0.5, v[28:29]
	v_fma_f64 v[70:71], s[2:3], v[20:21], v[10:11]
	v_fmac_f64_e32 v[10:11], s[12:13], v[20:21]
	v_fmac_f64_e32 v[70:71], s[10:11], v[12:13]
	;; [unrolled: 1-line block ×3, first 2 shown]
	v_mul_lo_u16_e32 v12, 5, v52
	v_fmac_f64_e32 v[68:69], s[4:5], v[54:55]
	v_fmac_f64_e32 v[8:9], s[4:5], v[54:55]
	v_lshl_add_u32 v54, v12, 4, v242
	s_barrier
	ds_write_b128 v54, v[24:27]
	ds_write_b128 v54, v[32:35] offset:16
	ds_write_b128 v54, v[64:67] offset:32
	;; [unrolled: 1-line block ×4, first 2 shown]
	v_mul_u32_u24_e32 v0, 5, v248
	v_add_f64 v[42:43], v[42:43], v[22:23]
	v_lshl_add_u32 v0, v0, 4, v242
	v_add_f64 v[42:43], v[42:43], v[30:31]
	v_add_f64 v[14:15], v[22:23], -v[14:15]
	v_add_f64 v[22:23], v[30:31], -v[38:39]
	ds_write_b128 v0, v[72:75]
	ds_write_b128 v0, v[80:83] offset:16
	ds_write_b128 v0, v[84:87] offset:32
	;; [unrolled: 1-line block ×4, first 2 shown]
	v_accvgpr_write_b32 a80, v0
	v_mul_u32_u24_e32 v0, 5, v250
	v_add_f64 v[42:43], v[42:43], v[38:39]
	v_add_f64 v[14:15], v[14:15], v[22:23]
	v_lshl_add_u32 v0, v0, 4, v242
	v_fmac_f64_e32 v[70:71], s[4:5], v[14:15]
	v_fmac_f64_e32 v[10:11], s[4:5], v[14:15]
	ds_write_b128 v0, v[40:43]
	ds_write_b128 v0, v[60:63] offset:16
	ds_write_b128 v0, v[68:71] offset:32
	;; [unrolled: 1-line block ×4, first 2 shown]
	v_mul_lo_u16_sdwa v40, v52, s15 dst_sel:DWORD dst_unused:UNUSED_PAD src0_sel:BYTE_0 src1_sel:DWORD
	v_lshrrev_b16_e32 v55, 10, v40
	v_mul_lo_u16_e32 v40, 5, v55
	v_sub_u16_e32 v88, v52, v40
	v_lshlrev_b32_sdwa v40, v53, v88 dst_sel:DWORD dst_unused:UNUSED_PAD src0_sel:DWORD src1_sel:BYTE_0
	v_accvgpr_write_b32 a79, v0
	s_waitcnt lgkmcnt(0)
	s_barrier
	ds_read_b128 v[68:71], v48
	ds_read_b128 v[32:35], v48 offset:6000
	ds_read_b128 v[36:39], v48 offset:12000
	;; [unrolled: 1-line block ×14, first 2 shown]
	global_load_dwordx4 v[108:111], v40, s[6:7] offset:48
	global_load_dwordx4 v[112:115], v40, s[6:7] offset:32
	;; [unrolled: 1-line block ×3, first 2 shown]
	global_load_dwordx4 v[120:123], v40, s[6:7]
	global_load_dwordx4 v[124:127], v56, s[6:7] offset:48
	global_load_dwordx4 v[128:131], v56, s[6:7] offset:32
	;; [unrolled: 1-line block ×3, first 2 shown]
	global_load_dwordx4 v[136:139], v56, s[6:7]
	s_mov_b32 s15, 0xcccd
	v_mov_b32_e32 v56, 41
	s_waitcnt vmcnt(4) lgkmcnt(13)
	v_mul_f64 v[40:41], v[34:35], v[122:123]
	v_fma_f64 v[40:41], v[32:33], v[120:121], -v[40:41]
	v_mul_f64 v[32:33], v[32:33], v[122:123]
	v_fmac_f64_e32 v[32:33], v[34:35], v[120:121]
	s_waitcnt lgkmcnt(12)
	v_mul_f64 v[34:35], v[38:39], v[118:119]
	v_fma_f64 v[42:43], v[36:37], v[116:117], -v[34:35]
	v_mul_f64 v[34:35], v[36:37], v[118:119]
	s_waitcnt lgkmcnt(11)
	v_mul_f64 v[36:37], v[74:75], v[114:115]
	v_fma_f64 v[44:45], v[72:73], v[112:113], -v[36:37]
	v_mul_f64 v[36:37], v[72:73], v[114:115]
	s_waitcnt vmcnt(0) lgkmcnt(8)
	v_mul_f64 v[72:73], v[30:31], v[138:139]
	v_fma_f64 v[72:73], v[28:29], v[136:137], -v[72:73]
	v_mul_f64 v[28:29], v[28:29], v[138:139]
	v_fmac_f64_e32 v[28:29], v[30:31], v[136:137]
	s_waitcnt lgkmcnt(7)
	v_mul_f64 v[30:31], v[26:27], v[134:135]
	v_fma_f64 v[30:31], v[24:25], v[132:133], -v[30:31]
	v_mul_f64 v[24:25], v[24:25], v[134:135]
	v_fmac_f64_e32 v[24:25], v[26:27], v[132:133]
	s_waitcnt lgkmcnt(6)
	;; [unrolled: 5-line block ×3, first 2 shown]
	v_mul_f64 v[22:23], v[18:19], v[126:127]
	v_fma_f64 v[22:23], v[16:17], v[124:125], -v[22:23]
	v_mul_f64 v[16:17], v[16:17], v[126:127]
	v_fmac_f64_e32 v[16:17], v[18:19], v[124:125]
	v_mul_u32_u24_sdwa v18, v250, s15 dst_sel:DWORD dst_unused:UNUSED_PAD src0_sel:WORD_0 src1_sel:DWORD
	v_lshrrev_b32_e32 v91, 18, v18
	v_mul_lo_u16_e32 v18, 5, v91
	v_sub_u16_e32 v92, v250, v18
	v_lshlrev_b16_e32 v18, 2, v92
	v_lshlrev_b32_e32 v18, 4, v18
	global_load_dwordx4 v[152:155], v18, s[6:7] offset:48
	global_load_dwordx4 v[156:159], v18, s[6:7] offset:32
	;; [unrolled: 1-line block ×3, first 2 shown]
	global_load_dwordx4 v[168:171], v18, s[6:7]
	v_fmac_f64_e32 v[34:35], v[38:39], v[116:117]
	v_fmac_f64_e32 v[36:37], v[74:75], v[112:113]
	v_mul_f64 v[38:39], v[78:79], v[110:111]
	v_fma_f64 v[46:47], v[76:77], v[108:109], -v[38:39]
	v_mul_f64 v[38:39], v[76:77], v[110:111]
	v_fmac_f64_e32 v[38:39], v[78:79], v[108:109]
	s_waitcnt lgkmcnt(0)
	s_barrier
	s_movk_i32 s15, 0x47af
	s_waitcnt vmcnt(3)
	v_mul_f64 v[78:79], v[0:1], v[154:155]
	s_waitcnt vmcnt(2)
	v_mul_f64 v[76:77], v[4:5], v[158:159]
	;; [unrolled: 2-line block ×4, first 2 shown]
	v_fma_f64 v[80:81], v[12:13], v[168:169], -v[18:19]
	v_mul_f64 v[18:19], v[12:13], v[170:171]
	v_mul_f64 v[12:13], v[10:11], v[166:167]
	v_fma_f64 v[82:83], v[8:9], v[164:165], -v[12:13]
	v_mul_f64 v[8:9], v[6:7], v[158:159]
	v_fma_f64 v[84:85], v[4:5], v[156:157], -v[8:9]
	;; [unrolled: 2-line block ×3, first 2 shown]
	v_add_f64 v[0:1], v[68:69], v[40:41]
	v_add_f64 v[0:1], v[0:1], v[42:43]
	;; [unrolled: 1-line block ×5, first 2 shown]
	v_fmac_f64_e32 v[78:79], v[2:3], v[152:153]
	v_fma_f64 v[0:1], -0.5, v[0:1], v[68:69]
	v_add_f64 v[2:3], v[32:33], -v[38:39]
	v_fmac_f64_e32 v[74:75], v[10:11], v[164:165]
	v_fmac_f64_e32 v[76:77], v[6:7], v[156:157]
	v_fma_f64 v[8:9], s[2:3], v[2:3], v[0:1]
	v_add_f64 v[6:7], v[34:35], -v[36:37]
	v_add_f64 v[10:11], v[40:41], -v[42:43]
	;; [unrolled: 1-line block ×3, first 2 shown]
	v_fmac_f64_e32 v[0:1], s[12:13], v[2:3]
	v_fmac_f64_e32 v[8:9], s[8:9], v[6:7]
	v_add_f64 v[10:11], v[10:11], v[12:13]
	v_fmac_f64_e32 v[0:1], s[10:11], v[6:7]
	v_fmac_f64_e32 v[8:9], s[4:5], v[10:11]
	;; [unrolled: 1-line block ×3, first 2 shown]
	v_add_f64 v[10:11], v[40:41], v[46:47]
	v_fmac_f64_e32 v[68:69], -0.5, v[10:11]
	v_fma_f64 v[12:13], s[12:13], v[6:7], v[68:69]
	v_fmac_f64_e32 v[68:69], s[2:3], v[6:7]
	v_fmac_f64_e32 v[12:13], s[8:9], v[2:3]
	;; [unrolled: 1-line block ×3, first 2 shown]
	v_add_f64 v[2:3], v[70:71], v[32:33]
	v_add_f64 v[2:3], v[2:3], v[34:35]
	;; [unrolled: 1-line block ×3, first 2 shown]
	v_fmac_f64_e32 v[18:19], v[14:15], v[168:169]
	v_add_f64 v[10:11], v[42:43], -v[40:41]
	v_add_f64 v[14:15], v[44:45], -v[46:47]
	v_add_f64 v[6:7], v[2:3], v[38:39]
	v_add_f64 v[2:3], v[34:35], v[36:37]
	;; [unrolled: 1-line block ×3, first 2 shown]
	v_fma_f64 v[2:3], -0.5, v[2:3], v[70:71]
	v_add_f64 v[40:41], v[40:41], -v[46:47]
	v_fmac_f64_e32 v[12:13], s[4:5], v[10:11]
	v_fmac_f64_e32 v[68:69], s[4:5], v[10:11]
	v_fma_f64 v[10:11], s[12:13], v[40:41], v[2:3]
	v_add_f64 v[42:43], v[42:43], -v[44:45]
	v_add_f64 v[14:15], v[32:33], -v[34:35]
	;; [unrolled: 1-line block ×3, first 2 shown]
	v_fmac_f64_e32 v[2:3], s[2:3], v[40:41]
	v_fmac_f64_e32 v[10:11], s[10:11], v[42:43]
	v_add_f64 v[14:15], v[14:15], v[44:45]
	v_fmac_f64_e32 v[2:3], s[8:9], v[42:43]
	v_fmac_f64_e32 v[10:11], s[4:5], v[14:15]
	;; [unrolled: 1-line block ×3, first 2 shown]
	v_add_f64 v[14:15], v[32:33], v[38:39]
	v_add_f64 v[32:33], v[34:35], -v[32:33]
	v_add_f64 v[34:35], v[36:37], -v[38:39]
	v_fmac_f64_e32 v[70:71], -0.5, v[14:15]
	v_add_f64 v[32:33], v[32:33], v[34:35]
	v_add_f64 v[34:35], v[30:31], v[26:27]
	v_fma_f64 v[14:15], s[2:3], v[42:43], v[70:71]
	v_fmac_f64_e32 v[70:71], s[12:13], v[42:43]
	v_fma_f64 v[36:37], -0.5, v[34:35], v[64:65]
	v_add_f64 v[34:35], v[28:29], -v[16:17]
	v_fmac_f64_e32 v[14:15], s[10:11], v[40:41]
	v_fmac_f64_e32 v[70:71], s[8:9], v[40:41]
	v_fma_f64 v[40:41], s[2:3], v[34:35], v[36:37]
	v_add_f64 v[38:39], v[24:25], -v[20:21]
	v_add_f64 v[42:43], v[72:73], -v[30:31]
	;; [unrolled: 1-line block ×3, first 2 shown]
	v_fmac_f64_e32 v[36:37], s[12:13], v[34:35]
	v_fmac_f64_e32 v[40:41], s[8:9], v[38:39]
	v_add_f64 v[42:43], v[42:43], v[44:45]
	v_fmac_f64_e32 v[36:37], s[10:11], v[38:39]
	v_fmac_f64_e32 v[14:15], s[4:5], v[32:33]
	;; [unrolled: 1-line block ×3, first 2 shown]
	v_add_f64 v[32:33], v[64:65], v[72:73]
	v_fmac_f64_e32 v[40:41], s[4:5], v[42:43]
	v_fmac_f64_e32 v[36:37], s[4:5], v[42:43]
	v_add_f64 v[42:43], v[72:73], v[22:23]
	v_add_f64 v[32:33], v[32:33], v[30:31]
	v_fmac_f64_e32 v[64:65], -0.5, v[42:43]
	v_add_f64 v[32:33], v[32:33], v[26:27]
	v_fma_f64 v[44:45], s[12:13], v[38:39], v[64:65]
	v_add_f64 v[42:43], v[30:31], -v[72:73]
	v_add_f64 v[46:47], v[26:27], -v[22:23]
	v_fmac_f64_e32 v[64:65], s[2:3], v[38:39]
	v_add_f64 v[38:39], v[24:25], v[20:21]
	v_add_f64 v[32:33], v[32:33], v[22:23]
	v_fmac_f64_e32 v[44:45], s[8:9], v[34:35]
	v_add_f64 v[42:43], v[42:43], v[46:47]
	v_fmac_f64_e32 v[64:65], s[10:11], v[34:35]
	v_fma_f64 v[38:39], -0.5, v[38:39], v[66:67]
	v_add_f64 v[22:23], v[72:73], -v[22:23]
	v_fmac_f64_e32 v[44:45], s[4:5], v[42:43]
	v_fmac_f64_e32 v[64:65], s[4:5], v[42:43]
	v_fma_f64 v[42:43], s[12:13], v[22:23], v[38:39]
	v_add_f64 v[26:27], v[30:31], -v[26:27]
	v_add_f64 v[30:31], v[28:29], -v[24:25]
	;; [unrolled: 1-line block ×3, first 2 shown]
	v_fmac_f64_e32 v[38:39], s[2:3], v[22:23]
	v_add_f64 v[34:35], v[66:67], v[28:29]
	v_fmac_f64_e32 v[42:43], s[10:11], v[26:27]
	v_add_f64 v[30:31], v[30:31], v[46:47]
	;; [unrolled: 2-line block ×3, first 2 shown]
	v_fmac_f64_e32 v[42:43], s[4:5], v[30:31]
	v_fmac_f64_e32 v[38:39], s[4:5], v[30:31]
	v_add_f64 v[30:31], v[28:29], v[16:17]
	v_add_f64 v[34:35], v[34:35], v[20:21]
	v_fmac_f64_e32 v[66:67], -0.5, v[30:31]
	v_add_f64 v[34:35], v[34:35], v[16:17]
	v_fma_f64 v[46:47], s[2:3], v[26:27], v[66:67]
	v_add_f64 v[24:25], v[24:25], -v[28:29]
	v_add_f64 v[16:17], v[20:21], -v[16:17]
	v_fmac_f64_e32 v[66:67], s[12:13], v[26:27]
	v_fmac_f64_e32 v[46:47], s[10:11], v[22:23]
	v_add_f64 v[16:17], v[24:25], v[16:17]
	v_fmac_f64_e32 v[66:67], s[8:9], v[22:23]
	v_fmac_f64_e32 v[46:47], s[4:5], v[16:17]
	;; [unrolled: 1-line block ×3, first 2 shown]
	v_add_f64 v[16:17], v[60:61], v[80:81]
	v_add_f64 v[16:17], v[16:17], v[82:83]
	;; [unrolled: 1-line block ×5, first 2 shown]
	v_fma_f64 v[24:25], -0.5, v[16:17], v[60:61]
	v_add_f64 v[16:17], v[18:19], -v[78:79]
	v_fma_f64 v[28:29], s[2:3], v[16:17], v[24:25]
	v_add_f64 v[22:23], v[74:75], -v[76:77]
	v_add_f64 v[26:27], v[80:81], -v[82:83]
	;; [unrolled: 1-line block ×3, first 2 shown]
	v_fmac_f64_e32 v[24:25], s[12:13], v[16:17]
	v_fmac_f64_e32 v[28:29], s[8:9], v[22:23]
	v_add_f64 v[26:27], v[26:27], v[30:31]
	v_fmac_f64_e32 v[24:25], s[10:11], v[22:23]
	v_fmac_f64_e32 v[28:29], s[4:5], v[26:27]
	;; [unrolled: 1-line block ×3, first 2 shown]
	v_add_f64 v[26:27], v[80:81], v[86:87]
	v_fmac_f64_e32 v[60:61], -0.5, v[26:27]
	v_fma_f64 v[94:95], s[12:13], v[22:23], v[60:61]
	v_fmac_f64_e32 v[60:61], s[2:3], v[22:23]
	v_fmac_f64_e32 v[94:95], s[8:9], v[16:17]
	;; [unrolled: 1-line block ×3, first 2 shown]
	v_add_f64 v[16:17], v[62:63], v[18:19]
	v_add_f64 v[16:17], v[16:17], v[74:75]
	v_add_f64 v[26:27], v[82:83], -v[80:81]
	v_add_f64 v[30:31], v[84:85], -v[86:87]
	v_add_f64 v[16:17], v[16:17], v[76:77]
	v_add_f64 v[26:27], v[26:27], v[30:31]
	;; [unrolled: 1-line block ×4, first 2 shown]
	v_fmac_f64_e32 v[94:95], s[4:5], v[26:27]
	v_fmac_f64_e32 v[60:61], s[4:5], v[26:27]
	v_fma_f64 v[26:27], -0.5, v[16:17], v[62:63]
	v_add_f64 v[16:17], v[80:81], -v[86:87]
	v_fma_f64 v[30:31], s[12:13], v[16:17], v[26:27]
	v_add_f64 v[72:73], v[82:83], -v[84:85]
	v_add_f64 v[80:81], v[18:19], -v[74:75]
	;; [unrolled: 1-line block ×3, first 2 shown]
	v_fmac_f64_e32 v[26:27], s[2:3], v[16:17]
	v_fmac_f64_e32 v[30:31], s[10:11], v[72:73]
	v_add_f64 v[80:81], v[80:81], v[82:83]
	v_fmac_f64_e32 v[26:27], s[8:9], v[72:73]
	v_fmac_f64_e32 v[30:31], s[4:5], v[80:81]
	;; [unrolled: 1-line block ×3, first 2 shown]
	v_add_f64 v[80:81], v[18:19], v[78:79]
	v_fmac_f64_e32 v[62:63], -0.5, v[80:81]
	v_fma_f64 v[96:97], s[2:3], v[72:73], v[62:63]
	v_fmac_f64_e32 v[62:63], s[12:13], v[72:73]
	v_fmac_f64_e32 v[96:97], s[10:11], v[16:17]
	;; [unrolled: 1-line block ×3, first 2 shown]
	v_mul_u32_u24_e32 v16, 25, v55
	v_add_u32_sdwa v16, v16, v88 dst_sel:DWORD dst_unused:UNUSED_PAD src0_sel:DWORD src1_sel:BYTE_0
	v_lshl_add_u32 v16, v16, 4, v242
	ds_write_b128 v16, v[4:7]
	ds_write_b128 v16, v[8:11] offset:80
	ds_write_b128 v16, v[12:15] offset:160
	;; [unrolled: 1-line block ×4, first 2 shown]
	v_mul_u32_u24_e32 v0, 25, v89
	v_add_u32_sdwa v0, v0, v90 dst_sel:DWORD dst_unused:UNUSED_PAD src0_sel:DWORD src1_sel:BYTE_0
	v_lshl_add_u32 v0, v0, 4, v242
	ds_write_b128 v0, v[32:35]
	ds_write_b128 v0, v[40:43] offset:80
	ds_write_b128 v0, v[44:47] offset:160
	;; [unrolled: 1-line block ×4, first 2 shown]
	v_mul_lo_u16_sdwa v44, v52, v56 dst_sel:DWORD dst_unused:UNUSED_PAD src0_sel:BYTE_0 src1_sel:DWORD
	v_lshrrev_b16_e32 v55, 10, v44
	v_add_f64 v[18:19], v[74:75], -v[18:19]
	v_add_f64 v[74:75], v[76:77], -v[78:79]
	v_mul_lo_u16_e32 v44, 25, v55
	v_add_f64 v[18:19], v[18:19], v[74:75]
	v_accvgpr_write_b32 a64, v0
	v_mad_legacy_u16 v0, v91, 25, v92
	v_sub_u16_e32 v196, v52, v44
	v_fmac_f64_e32 v[62:63], s[4:5], v[18:19]
	v_lshl_add_u32 v0, v0, 4, v242
	v_lshlrev_b32_sdwa v44, v53, v196 dst_sel:DWORD dst_unused:UNUSED_PAD src0_sel:DWORD src1_sel:BYTE_0
	v_fmac_f64_e32 v[96:97], s[4:5], v[18:19]
	v_accvgpr_write_b32 a78, v16
	ds_write_b128 v0, v[20:23]
	ds_write_b128 v0, v[28:31] offset:80
	ds_write_b128 v0, v[94:97] offset:160
	;; [unrolled: 1-line block ×4, first 2 shown]
	v_accvgpr_write_b32 a65, v0
	s_waitcnt lgkmcnt(0)
	s_barrier
	ds_read_b128 v[148:151], v48
	ds_read_b128 v[32:35], v48 offset:6000
	ds_read_b128 v[36:39], v48 offset:12000
	;; [unrolled: 1-line block ×14, first 2 shown]
	global_load_dwordx4 v[58:61], v44, s[6:7] offset:368
	global_load_dwordx4 v[62:65], v44, s[6:7] offset:352
	;; [unrolled: 1-line block ×4, first 2 shown]
	v_mul_u32_u24_e32 v55, 0x7d, v55
	v_add_u32_sdwa v55, v55, v196 dst_sel:DWORD dst_unused:UNUSED_PAD src0_sel:DWORD src1_sel:BYTE_0
	v_lshl_add_u32 v55, v55, 4, v242
	v_accvgpr_write_b32 a81, v55
	s_waitcnt vmcnt(3) lgkmcnt(10)
	v_mul_f64 v[162:163], v[76:77], v[60:61]
	v_fmac_f64_e32 v[162:163], v[78:79], v[58:59]
	s_waitcnt vmcnt(2)
	v_mul_f64 v[160:161], v[40:41], v[64:65]
	s_waitcnt vmcnt(0)
	v_mul_f64 v[44:45], v[34:35], v[74:75]
	v_fma_f64 v[180:181], v[32:33], v[72:73], -v[44:45]
	v_mul_f64 v[44:45], v[32:33], v[74:75]
	v_mul_f64 v[32:33], v[38:39], v[68:69]
	v_fma_f64 v[176:177], v[36:37], v[66:67], -v[32:33]
	v_mul_f64 v[32:33], v[42:43], v[64:65]
	v_fma_f64 v[182:183], v[40:41], v[62:63], -v[32:33]
	v_mul_f64 v[32:33], v[78:79], v[60:61]
	v_fma_f64 v[186:187], v[76:77], v[58:59], -v[32:33]
	v_mul_lo_u16_sdwa v32, v248, v56 dst_sel:DWORD dst_unused:UNUSED_PAD src0_sel:BYTE_0 src1_sel:DWORD
	v_lshrrev_b16_e32 v197, 10, v32
	v_mul_lo_u16_e32 v32, 25, v197
	v_sub_u16_e32 v198, v248, v32
	v_lshlrev_b32_sdwa v32, v53, v198 dst_sel:DWORD dst_unused:UNUSED_PAD src0_sel:DWORD src1_sel:BYTE_0
	global_load_dwordx4 v[76:79], v32, s[6:7] offset:368
	global_load_dwordx4 v[80:83], v32, s[6:7] offset:352
	;; [unrolled: 1-line block ×4, first 2 shown]
	v_fmac_f64_e32 v[44:45], v[34:35], v[72:73]
	v_mul_f64 v[46:47], v[36:37], v[68:69]
	v_fmac_f64_e32 v[160:161], v[42:43], v[62:63]
	v_fmac_f64_e32 v[46:47], v[38:39], v[66:67]
	v_accvgpr_write_b32 a77, v69
	v_accvgpr_write_b32 a73, v65
	;; [unrolled: 1-line block ×12, first 2 shown]
	s_waitcnt vmcnt(3) lgkmcnt(5)
	v_mul_f64 v[38:39], v[16:17], v[78:79]
	s_waitcnt vmcnt(2)
	v_mul_f64 v[36:37], v[20:21], v[82:83]
	s_waitcnt vmcnt(1)
	;; [unrolled: 2-line block ×3, first 2 shown]
	v_mul_f64 v[32:33], v[30:31], v[90:91]
	v_fma_f64 v[40:41], v[28:29], v[88:89], -v[32:33]
	v_mul_f64 v[32:33], v[28:29], v[90:91]
	v_mul_f64 v[28:29], v[26:27], v[86:87]
	v_fmac_f64_e32 v[32:33], v[30:31], v[88:89]
	v_fma_f64 v[30:31], v[24:25], v[84:85], -v[28:29]
	v_mul_f64 v[24:25], v[22:23], v[82:83]
	v_fma_f64 v[42:43], v[20:21], v[80:81], -v[24:25]
	v_mul_f64 v[20:21], v[18:19], v[78:79]
	v_fmac_f64_e32 v[34:35], v[26:27], v[84:85]
	v_fma_f64 v[26:27], v[16:17], v[76:77], -v[20:21]
	v_mul_u32_u24_sdwa v16, v250, s15 dst_sel:DWORD dst_unused:UNUSED_PAD src0_sel:WORD_0 src1_sel:DWORD
	v_sub_u16_sdwa v17, v250, v16 dst_sel:DWORD dst_unused:UNUSED_PAD src0_sel:DWORD src1_sel:WORD_1
	v_lshrrev_b16_e32 v17, 1, v17
	v_add_u16_sdwa v16, v17, v16 dst_sel:DWORD dst_unused:UNUSED_PAD src0_sel:DWORD src1_sel:WORD_1
	v_lshrrev_b16_e32 v53, 4, v16
	v_mul_lo_u16_e32 v16, 25, v53
	v_sub_u16_e32 v199, v250, v16
	v_lshlrev_b16_e32 v104, 6, v199
	v_lshl_add_u64 v[16:17], s[6:7], 0, v[104:105]
	global_load_dwordx4 v[92:95], v[16:17], off offset:368
	global_load_dwordx4 v[68:71], v[16:17], off offset:352
	;; [unrolled: 1-line block ×4, first 2 shown]
	v_fmac_f64_e32 v[38:39], v[18:19], v[76:77]
	v_add_f64 v[18:19], v[176:177], -v[182:183]
	v_add_f64 v[20:21], v[162:163], -v[160:161]
	v_fmac_f64_e32 v[36:37], v[22:23], v[80:81]
	v_add_f64 v[22:23], v[160:161], -v[162:163]
	v_add_f64 v[28:29], v[40:41], -v[30:31]
	s_waitcnt lgkmcnt(0)
	s_barrier
	s_waitcnt vmcnt(3)
	v_mul_f64 v[184:185], v[0:1], v[94:95]
	s_waitcnt vmcnt(2)
	v_mul_f64 v[178:179], v[4:5], v[70:71]
	;; [unrolled: 2-line block ×4, first 2 shown]
	v_fma_f64 v[188:189], v[12:13], v[60:61], -v[16:17]
	v_mul_f64 v[172:173], v[12:13], v[62:63]
	v_mul_f64 v[12:13], v[10:11], v[66:67]
	v_fma_f64 v[190:191], v[8:9], v[64:65], -v[12:13]
	v_mul_f64 v[8:9], v[6:7], v[70:71]
	v_fma_f64 v[192:193], v[4:5], v[68:69], -v[8:9]
	;; [unrolled: 2-line block ×3, first 2 shown]
	v_add_f64 v[0:1], v[148:149], v[180:181]
	v_add_f64 v[0:1], v[0:1], v[176:177]
	;; [unrolled: 1-line block ×5, first 2 shown]
	v_fmac_f64_e32 v[184:185], v[2:3], v[92:93]
	v_fma_f64 v[0:1], -0.5, v[0:1], v[148:149]
	v_add_f64 v[2:3], v[44:45], -v[162:163]
	v_fmac_f64_e32 v[174:175], v[10:11], v[64:65]
	v_fmac_f64_e32 v[178:179], v[6:7], v[68:69]
	v_fma_f64 v[8:9], s[2:3], v[2:3], v[0:1]
	v_add_f64 v[6:7], v[46:47], -v[160:161]
	v_add_f64 v[10:11], v[180:181], -v[176:177]
	;; [unrolled: 1-line block ×3, first 2 shown]
	v_fmac_f64_e32 v[0:1], s[12:13], v[2:3]
	v_fmac_f64_e32 v[8:9], s[8:9], v[6:7]
	v_add_f64 v[10:11], v[10:11], v[12:13]
	v_fmac_f64_e32 v[0:1], s[10:11], v[6:7]
	v_fmac_f64_e32 v[8:9], s[4:5], v[10:11]
	;; [unrolled: 1-line block ×3, first 2 shown]
	v_add_f64 v[10:11], v[180:181], v[186:187]
	v_fmac_f64_e32 v[148:149], -0.5, v[10:11]
	v_fma_f64 v[12:13], s[12:13], v[6:7], v[148:149]
	v_fmac_f64_e32 v[148:149], s[2:3], v[6:7]
	v_fmac_f64_e32 v[12:13], s[8:9], v[2:3]
	;; [unrolled: 1-line block ×3, first 2 shown]
	v_add_f64 v[2:3], v[150:151], v[44:45]
	v_add_f64 v[2:3], v[2:3], v[46:47]
	;; [unrolled: 1-line block ×3, first 2 shown]
	v_fmac_f64_e32 v[172:173], v[14:15], v[60:61]
	v_add_f64 v[10:11], v[176:177], -v[180:181]
	v_add_f64 v[14:15], v[182:183], -v[186:187]
	v_add_f64 v[6:7], v[2:3], v[162:163]
	v_add_f64 v[2:3], v[46:47], v[160:161]
	;; [unrolled: 1-line block ×3, first 2 shown]
	v_fma_f64 v[2:3], -0.5, v[2:3], v[150:151]
	v_add_f64 v[16:17], v[180:181], -v[186:187]
	v_fmac_f64_e32 v[12:13], s[4:5], v[10:11]
	v_fmac_f64_e32 v[148:149], s[4:5], v[10:11]
	v_fma_f64 v[10:11], s[12:13], v[16:17], v[2:3]
	v_add_f64 v[14:15], v[44:45], -v[46:47]
	v_fmac_f64_e32 v[2:3], s[2:3], v[16:17]
	v_fmac_f64_e32 v[10:11], s[10:11], v[18:19]
	v_add_f64 v[14:15], v[14:15], v[20:21]
	v_fmac_f64_e32 v[2:3], s[8:9], v[18:19]
	v_fmac_f64_e32 v[10:11], s[4:5], v[14:15]
	;; [unrolled: 1-line block ×3, first 2 shown]
	v_add_f64 v[14:15], v[44:45], v[162:163]
	v_fmac_f64_e32 v[150:151], -0.5, v[14:15]
	v_fma_f64 v[14:15], s[2:3], v[18:19], v[150:151]
	v_fmac_f64_e32 v[150:151], s[12:13], v[18:19]
	v_fmac_f64_e32 v[14:15], s[10:11], v[16:17]
	;; [unrolled: 1-line block ×3, first 2 shown]
	v_add_f64 v[16:17], v[144:145], v[40:41]
	v_add_f64 v[20:21], v[46:47], -v[44:45]
	v_add_f64 v[16:17], v[16:17], v[30:31]
	v_add_f64 v[20:21], v[20:21], v[22:23]
	;; [unrolled: 1-line block ×3, first 2 shown]
	v_fmac_f64_e32 v[14:15], s[4:5], v[20:21]
	v_fmac_f64_e32 v[150:151], s[4:5], v[20:21]
	v_add_f64 v[20:21], v[16:17], v[26:27]
	v_add_f64 v[16:17], v[30:31], v[42:43]
	v_fma_f64 v[16:17], -0.5, v[16:17], v[144:145]
	v_add_f64 v[18:19], v[32:33], -v[38:39]
	v_fma_f64 v[24:25], s[2:3], v[18:19], v[16:17]
	v_add_f64 v[22:23], v[34:35], -v[36:37]
	v_add_f64 v[44:45], v[26:27], -v[42:43]
	v_fmac_f64_e32 v[16:17], s[12:13], v[18:19]
	v_fmac_f64_e32 v[24:25], s[8:9], v[22:23]
	v_add_f64 v[28:29], v[28:29], v[44:45]
	v_fmac_f64_e32 v[16:17], s[10:11], v[22:23]
	v_fmac_f64_e32 v[24:25], s[4:5], v[28:29]
	;; [unrolled: 1-line block ×3, first 2 shown]
	v_add_f64 v[28:29], v[40:41], v[26:27]
	v_fmac_f64_e32 v[144:145], -0.5, v[28:29]
	v_fma_f64 v[28:29], s[12:13], v[22:23], v[144:145]
	v_fmac_f64_e32 v[144:145], s[2:3], v[22:23]
	v_fmac_f64_e32 v[28:29], s[8:9], v[18:19]
	;; [unrolled: 1-line block ×3, first 2 shown]
	v_add_f64 v[18:19], v[146:147], v[32:33]
	v_add_f64 v[18:19], v[18:19], v[34:35]
	;; [unrolled: 1-line block ×3, first 2 shown]
	v_add_f64 v[44:45], v[30:31], -v[40:41]
	v_add_f64 v[46:47], v[42:43], -v[26:27]
	v_add_f64 v[22:23], v[18:19], v[38:39]
	v_add_f64 v[18:19], v[34:35], v[36:37]
	;; [unrolled: 1-line block ×3, first 2 shown]
	v_fma_f64 v[18:19], -0.5, v[18:19], v[146:147]
	v_add_f64 v[40:41], v[40:41], -v[26:27]
	v_fmac_f64_e32 v[28:29], s[4:5], v[44:45]
	v_fmac_f64_e32 v[144:145], s[4:5], v[44:45]
	v_fma_f64 v[26:27], s[12:13], v[40:41], v[18:19]
	v_add_f64 v[42:43], v[30:31], -v[42:43]
	v_add_f64 v[30:31], v[32:33], -v[34:35]
	;; [unrolled: 1-line block ×3, first 2 shown]
	v_fmac_f64_e32 v[18:19], s[2:3], v[40:41]
	v_fmac_f64_e32 v[26:27], s[10:11], v[42:43]
	v_add_f64 v[30:31], v[30:31], v[44:45]
	v_fmac_f64_e32 v[18:19], s[8:9], v[42:43]
	v_fmac_f64_e32 v[26:27], s[4:5], v[30:31]
	;; [unrolled: 1-line block ×3, first 2 shown]
	v_add_f64 v[30:31], v[32:33], v[38:39]
	v_fmac_f64_e32 v[146:147], -0.5, v[30:31]
	v_fma_f64 v[30:31], s[2:3], v[42:43], v[146:147]
	v_add_f64 v[32:33], v[34:35], -v[32:33]
	v_add_f64 v[34:35], v[36:37], -v[38:39]
	v_fmac_f64_e32 v[146:147], s[12:13], v[42:43]
	v_fmac_f64_e32 v[30:31], s[10:11], v[40:41]
	v_add_f64 v[32:33], v[32:33], v[34:35]
	v_fmac_f64_e32 v[146:147], s[8:9], v[40:41]
	v_fmac_f64_e32 v[30:31], s[4:5], v[32:33]
	;; [unrolled: 1-line block ×3, first 2 shown]
	v_add_f64 v[32:33], v[140:141], v[188:189]
	v_add_f64 v[32:33], v[32:33], v[190:191]
	;; [unrolled: 1-line block ×5, first 2 shown]
	v_fma_f64 v[32:33], -0.5, v[32:33], v[140:141]
	v_add_f64 v[34:35], v[172:173], -v[184:185]
	v_fma_f64 v[40:41], s[2:3], v[34:35], v[32:33]
	v_add_f64 v[38:39], v[174:175], -v[178:179]
	v_add_f64 v[42:43], v[188:189], -v[190:191]
	;; [unrolled: 1-line block ×3, first 2 shown]
	v_fmac_f64_e32 v[32:33], s[12:13], v[34:35]
	v_fmac_f64_e32 v[40:41], s[8:9], v[38:39]
	v_add_f64 v[42:43], v[42:43], v[44:45]
	v_fmac_f64_e32 v[32:33], s[10:11], v[38:39]
	v_fmac_f64_e32 v[40:41], s[4:5], v[42:43]
	;; [unrolled: 1-line block ×3, first 2 shown]
	v_add_f64 v[42:43], v[188:189], v[194:195]
	v_fmac_f64_e32 v[140:141], -0.5, v[42:43]
	v_fma_f64 v[44:45], s[12:13], v[38:39], v[140:141]
	v_fmac_f64_e32 v[140:141], s[2:3], v[38:39]
	v_fmac_f64_e32 v[44:45], s[8:9], v[34:35]
	;; [unrolled: 1-line block ×3, first 2 shown]
	v_add_f64 v[34:35], v[142:143], v[172:173]
	v_add_f64 v[34:35], v[34:35], v[174:175]
	v_add_f64 v[34:35], v[34:35], v[178:179]
	v_add_f64 v[42:43], v[190:191], -v[188:189]
	v_add_f64 v[46:47], v[192:193], -v[194:195]
	v_add_f64 v[38:39], v[34:35], v[184:185]
	v_add_f64 v[34:35], v[174:175], v[178:179]
	v_add_f64 v[42:43], v[42:43], v[46:47]
	v_fma_f64 v[34:35], -0.5, v[34:35], v[142:143]
	v_add_f64 v[160:161], v[188:189], -v[194:195]
	v_fmac_f64_e32 v[44:45], s[4:5], v[42:43]
	v_fmac_f64_e32 v[140:141], s[4:5], v[42:43]
	v_fma_f64 v[42:43], s[12:13], v[160:161], v[34:35]
	v_add_f64 v[162:163], v[190:191], -v[192:193]
	v_add_f64 v[46:47], v[172:173], -v[174:175]
	v_add_f64 v[176:177], v[184:185], -v[178:179]
	v_fmac_f64_e32 v[34:35], s[2:3], v[160:161]
	v_fmac_f64_e32 v[42:43], s[10:11], v[162:163]
	v_add_f64 v[46:47], v[46:47], v[176:177]
	v_fmac_f64_e32 v[34:35], s[8:9], v[162:163]
	ds_write_b128 v55, v[4:7]
	ds_write_b128 v55, v[8:11] offset:400
	ds_write_b128 v55, v[12:15] offset:800
	;; [unrolled: 1-line block ×4, first 2 shown]
	v_mul_u32_u24_e32 v0, 0x7d, v197
	v_fmac_f64_e32 v[42:43], s[4:5], v[46:47]
	v_fmac_f64_e32 v[34:35], s[4:5], v[46:47]
	v_add_f64 v[46:47], v[172:173], v[184:185]
	v_add_u32_sdwa v0, v0, v198 dst_sel:DWORD dst_unused:UNUSED_PAD src0_sel:DWORD src1_sel:BYTE_0
	v_fmac_f64_e32 v[142:143], -0.5, v[46:47]
	v_lshl_add_u32 v0, v0, 4, v242
	v_fma_f64 v[46:47], s[2:3], v[162:163], v[142:143]
	v_add_f64 v[172:173], v[174:175], -v[172:173]
	v_add_f64 v[174:175], v[178:179], -v[184:185]
	v_fmac_f64_e32 v[142:143], s[12:13], v[162:163]
	ds_write_b128 v0, v[20:23]
	ds_write_b128 v0, v[24:27] offset:400
	ds_write_b128 v0, v[28:31] offset:800
	;; [unrolled: 1-line block ×4, first 2 shown]
	v_accvgpr_write_b32 a82, v0
	v_mad_legacy_u16 v0, v53, s14, v199
	v_fmac_f64_e32 v[46:47], s[10:11], v[160:161]
	v_add_f64 v[172:173], v[172:173], v[174:175]
	v_fmac_f64_e32 v[142:143], s[8:9], v[160:161]
	v_lshl_add_u32 v55, v0, 4, v242
	v_fmac_f64_e32 v[46:47], s[4:5], v[172:173]
	v_fmac_f64_e32 v[142:143], s[4:5], v[172:173]
	ds_write_b128 v55, v[36:39]
	ds_write_b128 v55, v[40:43] offset:400
	ds_write_b128 v55, v[44:47] offset:800
	;; [unrolled: 1-line block ×4, first 2 shown]
	v_lshlrev_b32_e32 v32, 6, v52
	s_waitcnt lgkmcnt(0)
	s_barrier
	ds_read_b128 v[196:199], v48
	ds_read_b128 v[16:19], v48 offset:6000
	ds_read_b128 v[20:23], v48 offset:12000
	;; [unrolled: 1-line block ×14, first 2 shown]
	global_load_dwordx4 v[140:143], v32, s[6:7] offset:1968
	global_load_dwordx4 v[144:147], v32, s[6:7] offset:1952
	;; [unrolled: 1-line block ×4, first 2 shown]
	s_movk_i32 s14, 0x625
	v_mul_u32_u24_sdwa v53, v250, s14 dst_sel:DWORD dst_unused:UNUSED_PAD src0_sel:WORD_0 src1_sel:DWORD
	v_sub_u16_sdwa v56, v250, v53 dst_sel:DWORD dst_unused:UNUSED_PAD src0_sel:DWORD src1_sel:WORD_1
	v_lshrrev_b16_e32 v56, 1, v56
	v_add_u16_sdwa v53, v56, v53 dst_sel:DWORD dst_unused:UNUSED_PAD src0_sel:DWORD src1_sel:WORD_1
	v_lshrrev_b16_e32 v53, 6, v53
	v_mul_lo_u16_e32 v53, 0x7d, v53
	v_sub_u16_e32 v53, v250, v53
	v_lshlrev_b16_e32 v104, 6, v53
	s_mov_b64 s[14:15], 0x26c0
	v_lshl_add_u32 v53, v53, 4, v242
	s_waitcnt vmcnt(3) lgkmcnt(10)
	v_mul_f64 v[38:39], v[28:29], v[142:143]
	s_waitcnt vmcnt(2)
	v_mul_f64 v[36:37], v[24:25], v[146:147]
	s_waitcnt vmcnt(1)
	;; [unrolled: 2-line block ×3, first 2 shown]
	v_mul_f64 v[32:33], v[18:19], v[162:163]
	v_fma_f64 v[40:41], v[16:17], v[160:161], -v[32:33]
	v_mul_f64 v[32:33], v[16:17], v[162:163]
	v_mul_f64 v[16:17], v[22:23], v[150:151]
	v_fma_f64 v[42:43], v[20:21], v[148:149], -v[16:17]
	v_mul_f64 v[16:17], v[26:27], v[146:147]
	v_fma_f64 v[44:45], v[24:25], v[144:145], -v[16:17]
	v_mul_f64 v[16:17], v[30:31], v[142:143]
	v_fmac_f64_e32 v[32:33], v[18:19], v[160:161]
	v_fmac_f64_e32 v[34:35], v[22:23], v[148:149]
	v_fma_f64 v[46:47], v[28:29], v[140:141], -v[16:17]
	s_waitcnt lgkmcnt(8)
	v_mul_f64 v[16:17], v[174:175], v[162:163]
	s_waitcnt lgkmcnt(7)
	v_mul_f64 v[18:19], v[178:179], v[150:151]
	;; [unrolled: 2-line block ×4, first 2 shown]
	v_fmac_f64_e32 v[36:37], v[26:27], v[144:145]
	v_fmac_f64_e32 v[38:39], v[30:31], v[140:141]
	v_fma_f64 v[24:25], v[172:173], v[160:161], -v[16:17]
	v_mul_f64 v[16:17], v[172:173], v[162:163]
	v_fma_f64 v[26:27], v[176:177], v[148:149], -v[18:19]
	v_mul_f64 v[18:19], v[176:177], v[150:151]
	;; [unrolled: 2-line block ×4, first 2 shown]
	v_lshl_add_u64 v[184:185], s[6:7], 0, v[104:105]
	v_fmac_f64_e32 v[16:17], v[174:175], v[160:161]
	v_fmac_f64_e32 v[18:19], v[178:179], v[148:149]
	;; [unrolled: 1-line block ×4, first 2 shown]
	global_load_dwordx4 v[172:175], v[184:185], off offset:1968
	global_load_dwordx4 v[176:179], v[184:185], off offset:1952
	;; [unrolled: 1-line block ×3, first 2 shown]
	s_nop 0
	global_load_dwordx4 v[184:187], v[184:185], off offset:1920
	s_waitcnt lgkmcnt(0)
	s_barrier
	v_lshlrev_b32_e32 v104, 5, v248
	s_waitcnt vmcnt(3)
	v_mul_f64 v[238:239], v[0:1], v[174:175]
	s_waitcnt vmcnt(2)
	v_mul_f64 v[236:237], v[4:5], v[178:179]
	;; [unrolled: 2-line block ×4, first 2 shown]
	v_fma_f64 v[210:211], v[12:13], v[184:185], -v[200:201]
	v_mul_f64 v[232:233], v[12:13], v[186:187]
	v_mul_f64 v[12:13], v[10:11], v[182:183]
	v_fma_f64 v[218:219], v[8:9], v[180:181], -v[12:13]
	v_mul_f64 v[8:9], v[6:7], v[178:179]
	v_fma_f64 v[240:241], v[4:5], v[176:177], -v[8:9]
	;; [unrolled: 2-line block ×3, first 2 shown]
	v_add_f64 v[0:1], v[196:197], v[40:41]
	v_add_f64 v[0:1], v[0:1], v[42:43]
	;; [unrolled: 1-line block ×5, first 2 shown]
	v_fmac_f64_e32 v[238:239], v[2:3], v[172:173]
	v_fma_f64 v[224:225], -0.5, v[0:1], v[196:197]
	v_add_f64 v[2:3], v[32:33], -v[38:39]
	v_fmac_f64_e32 v[236:237], v[6:7], v[176:177]
	v_fma_f64 v[4:5], s[2:3], v[2:3], v[224:225]
	v_add_f64 v[6:7], v[34:35], -v[36:37]
	v_add_f64 v[0:1], v[40:41], -v[42:43]
	v_add_f64 v[8:9], v[46:47], -v[44:45]
	v_fmac_f64_e32 v[224:225], s[12:13], v[2:3]
	v_fmac_f64_e32 v[4:5], s[8:9], v[6:7]
	v_add_f64 v[0:1], v[0:1], v[8:9]
	v_fmac_f64_e32 v[224:225], s[10:11], v[6:7]
	v_fmac_f64_e32 v[4:5], s[4:5], v[0:1]
	;; [unrolled: 1-line block ×3, first 2 shown]
	v_add_f64 v[0:1], v[40:41], v[46:47]
	v_fmac_f64_e32 v[196:197], -0.5, v[0:1]
	v_fma_f64 v[0:1], s[12:13], v[6:7], v[196:197]
	v_fmac_f64_e32 v[196:197], s[2:3], v[6:7]
	v_fmac_f64_e32 v[0:1], s[8:9], v[2:3]
	;; [unrolled: 1-line block ×3, first 2 shown]
	v_add_f64 v[2:3], v[198:199], v[32:33]
	v_add_f64 v[2:3], v[2:3], v[34:35]
	v_fmac_f64_e32 v[234:235], v[10:11], v[180:181]
	v_add_f64 v[8:9], v[42:43], -v[40:41]
	v_add_f64 v[10:11], v[44:45], -v[46:47]
	v_add_f64 v[2:3], v[2:3], v[36:37]
	v_fmac_f64_e32 v[232:233], v[14:15], v[184:185]
	v_add_f64 v[8:9], v[8:9], v[10:11]
	v_add_f64 v[14:15], v[2:3], v[38:39]
	;; [unrolled: 1-line block ×3, first 2 shown]
	v_fmac_f64_e32 v[0:1], s[4:5], v[8:9]
	v_fmac_f64_e32 v[196:197], s[4:5], v[8:9]
	v_fma_f64 v[226:227], -0.5, v[2:3], v[198:199]
	v_add_f64 v[8:9], v[40:41], -v[46:47]
	v_fma_f64 v[6:7], s[12:13], v[8:9], v[226:227]
	v_add_f64 v[10:11], v[42:43], -v[44:45]
	v_add_f64 v[2:3], v[32:33], -v[34:35]
	;; [unrolled: 1-line block ×3, first 2 shown]
	v_fmac_f64_e32 v[226:227], s[2:3], v[8:9]
	v_fmac_f64_e32 v[6:7], s[10:11], v[10:11]
	v_add_f64 v[2:3], v[2:3], v[40:41]
	v_fmac_f64_e32 v[226:227], s[8:9], v[10:11]
	v_fmac_f64_e32 v[6:7], s[4:5], v[2:3]
	;; [unrolled: 1-line block ×3, first 2 shown]
	v_add_f64 v[2:3], v[32:33], v[38:39]
	v_fmac_f64_e32 v[198:199], -0.5, v[2:3]
	v_fma_f64 v[2:3], s[2:3], v[10:11], v[198:199]
	v_add_f64 v[32:33], v[34:35], -v[32:33]
	v_add_f64 v[34:35], v[36:37], -v[38:39]
	v_fmac_f64_e32 v[198:199], s[12:13], v[10:11]
	v_add_f64 v[10:11], v[26:27], v[28:29]
	v_fmac_f64_e32 v[2:3], s[10:11], v[8:9]
	v_add_f64 v[32:33], v[32:33], v[34:35]
	v_fmac_f64_e32 v[198:199], s[8:9], v[8:9]
	v_fma_f64 v[200:201], -0.5, v[10:11], v[192:193]
	v_add_f64 v[10:11], v[16:17], -v[22:23]
	v_fmac_f64_e32 v[2:3], s[4:5], v[32:33]
	v_fmac_f64_e32 v[198:199], s[4:5], v[32:33]
	v_fma_f64 v[228:229], s[2:3], v[10:11], v[200:201]
	v_add_f64 v[32:33], v[18:19], -v[20:21]
	v_add_f64 v[34:35], v[24:25], -v[26:27]
	v_add_f64 v[36:37], v[30:31], -v[28:29]
	v_fmac_f64_e32 v[200:201], s[12:13], v[10:11]
	v_fmac_f64_e32 v[228:229], s[8:9], v[32:33]
	v_add_f64 v[34:35], v[34:35], v[36:37]
	v_fmac_f64_e32 v[200:201], s[10:11], v[32:33]
	v_fmac_f64_e32 v[228:229], s[4:5], v[34:35]
	;; [unrolled: 1-line block ×3, first 2 shown]
	v_add_f64 v[34:35], v[24:25], v[30:31]
	v_add_f64 v[8:9], v[192:193], v[24:25]
	v_fmac_f64_e32 v[192:193], -0.5, v[34:35]
	v_add_f64 v[8:9], v[8:9], v[26:27]
	v_fma_f64 v[220:221], s[12:13], v[32:33], v[192:193]
	v_fmac_f64_e32 v[192:193], s[2:3], v[32:33]
	v_add_f64 v[32:33], v[18:19], v[20:21]
	v_add_f64 v[8:9], v[8:9], v[28:29]
	v_add_f64 v[34:35], v[26:27], -v[24:25]
	v_fma_f64 v[202:203], -0.5, v[32:33], v[194:195]
	v_add_f64 v[24:25], v[24:25], -v[30:31]
	v_add_f64 v[8:9], v[8:9], v[30:31]
	v_add_f64 v[36:37], v[28:29], -v[30:31]
	v_fma_f64 v[230:231], s[12:13], v[24:25], v[202:203]
	v_add_f64 v[26:27], v[26:27], -v[28:29]
	v_add_f64 v[28:29], v[16:17], -v[18:19]
	;; [unrolled: 1-line block ×3, first 2 shown]
	v_fmac_f64_e32 v[202:203], s[2:3], v[24:25]
	v_fmac_f64_e32 v[230:231], s[10:11], v[26:27]
	v_add_f64 v[28:29], v[28:29], v[30:31]
	v_fmac_f64_e32 v[202:203], s[8:9], v[26:27]
	v_fmac_f64_e32 v[230:231], s[4:5], v[28:29]
	;; [unrolled: 1-line block ×3, first 2 shown]
	v_add_f64 v[28:29], v[16:17], v[22:23]
	v_fmac_f64_e32 v[220:221], s[8:9], v[10:11]
	v_fmac_f64_e32 v[192:193], s[10:11], v[10:11]
	v_add_f64 v[10:11], v[194:195], v[16:17]
	v_fmac_f64_e32 v[194:195], -0.5, v[28:29]
	v_add_f64 v[10:11], v[10:11], v[18:19]
	v_fma_f64 v[222:223], s[2:3], v[26:27], v[194:195]
	v_add_f64 v[16:17], v[18:19], -v[16:17]
	v_add_f64 v[18:19], v[20:21], -v[22:23]
	v_fmac_f64_e32 v[194:195], s[12:13], v[26:27]
	v_fmac_f64_e32 v[222:223], s[10:11], v[24:25]
	v_add_f64 v[16:17], v[16:17], v[18:19]
	v_fmac_f64_e32 v[194:195], s[8:9], v[24:25]
	v_fmac_f64_e32 v[222:223], s[4:5], v[16:17]
	;; [unrolled: 1-line block ×3, first 2 shown]
	v_add_f64 v[16:17], v[188:189], v[210:211]
	v_add_f64 v[16:17], v[16:17], v[218:219]
	;; [unrolled: 1-line block ×6, first 2 shown]
	v_fma_f64 v[204:205], -0.5, v[16:17], v[188:189]
	v_add_f64 v[16:17], v[232:233], -v[238:239]
	v_add_f64 v[10:11], v[10:11], v[22:23]
	v_fma_f64 v[208:209], s[2:3], v[16:17], v[204:205]
	v_add_f64 v[18:19], v[234:235], -v[236:237]
	v_add_f64 v[20:21], v[210:211], -v[218:219]
	;; [unrolled: 1-line block ×3, first 2 shown]
	v_fmac_f64_e32 v[204:205], s[12:13], v[16:17]
	v_fmac_f64_e32 v[208:209], s[8:9], v[18:19]
	v_add_f64 v[20:21], v[20:21], v[22:23]
	v_fmac_f64_e32 v[204:205], s[10:11], v[18:19]
	v_fmac_f64_e32 v[208:209], s[4:5], v[20:21]
	;; [unrolled: 1-line block ×3, first 2 shown]
	v_add_f64 v[20:21], v[210:211], v[252:253]
	v_fmac_f64_e32 v[188:189], -0.5, v[20:21]
	v_fma_f64 v[216:217], s[12:13], v[18:19], v[188:189]
	v_fmac_f64_e32 v[188:189], s[2:3], v[18:19]
	v_fmac_f64_e32 v[216:217], s[8:9], v[16:17]
	;; [unrolled: 1-line block ×3, first 2 shown]
	v_add_f64 v[16:17], v[190:191], v[232:233]
	v_add_f64 v[16:17], v[16:17], v[234:235]
	;; [unrolled: 1-line block ×3, first 2 shown]
	v_add_f64 v[20:21], v[218:219], -v[210:211]
	v_add_f64 v[22:23], v[240:241], -v[252:253]
	v_add_f64 v[214:215], v[16:17], v[238:239]
	v_add_f64 v[16:17], v[234:235], v[236:237]
	;; [unrolled: 1-line block ×3, first 2 shown]
	v_fma_f64 v[206:207], -0.5, v[16:17], v[190:191]
	v_add_f64 v[16:17], v[210:211], -v[252:253]
	v_fmac_f64_e32 v[216:217], s[4:5], v[20:21]
	v_fmac_f64_e32 v[188:189], s[4:5], v[20:21]
	v_fma_f64 v[210:211], s[12:13], v[16:17], v[206:207]
	v_add_f64 v[18:19], v[218:219], -v[240:241]
	v_add_f64 v[20:21], v[232:233], -v[234:235]
	;; [unrolled: 1-line block ×3, first 2 shown]
	v_fmac_f64_e32 v[206:207], s[2:3], v[16:17]
	v_fmac_f64_e32 v[210:211], s[10:11], v[18:19]
	v_add_f64 v[20:21], v[20:21], v[22:23]
	v_fmac_f64_e32 v[206:207], s[8:9], v[18:19]
	v_fmac_f64_e32 v[210:211], s[4:5], v[20:21]
	;; [unrolled: 1-line block ×3, first 2 shown]
	v_add_f64 v[20:21], v[232:233], v[238:239]
	v_fmac_f64_e32 v[190:191], -0.5, v[20:21]
	v_add_f64 v[34:35], v[34:35], v[36:37]
	v_fma_f64 v[218:219], s[2:3], v[18:19], v[190:191]
	v_add_f64 v[20:21], v[234:235], -v[232:233]
	v_add_f64 v[22:23], v[236:237], -v[238:239]
	v_fmac_f64_e32 v[190:191], s[12:13], v[18:19]
	v_lshl_add_u64 v[36:37], s[6:7], 0, v[106:107]
	v_add_f64 v[20:21], v[20:21], v[22:23]
	v_fmac_f64_e32 v[190:191], s[8:9], v[16:17]
	v_lshl_add_u64 v[42:43], v[36:37], 0, s[14:15]
	v_add_co_u32_e32 v36, vcc, s16, v36
	v_fmac_f64_e32 v[192:193], s[4:5], v[34:35]
	v_fmac_f64_e32 v[218:219], s[10:11], v[16:17]
	;; [unrolled: 1-line block ×3, first 2 shown]
	v_addc_co_u32_e32 v37, vcc, 0, v37, vcc
	v_fmac_f64_e32 v[220:221], s[4:5], v[34:35]
	v_fmac_f64_e32 v[218:219], s[4:5], v[20:21]
	ds_write_b128 v48, v[12:15]
	ds_write_b128 v48, v[4:7] offset:2000
	ds_write_b128 v48, v[0:3] offset:4000
	;; [unrolled: 1-line block ×14, first 2 shown]
	s_waitcnt lgkmcnt(0)
	s_barrier
	ds_read_b128 v[0:3], v48
	ds_read_b128 v[38:41], v48 offset:10000
	ds_read_b128 v[196:199], v48 offset:20000
	;; [unrolled: 1-line block ×14, first 2 shown]
	global_load_dwordx4 v[188:191], v[36:37], off offset:1728
	global_load_dwordx4 v[192:195], v[42:43], off offset:16
	s_waitcnt vmcnt(1) lgkmcnt(13)
	v_mul_f64 v[36:37], v[40:41], v[190:191]
	v_fma_f64 v[36:37], v[38:39], v[188:189], -v[36:37]
	v_mul_f64 v[38:39], v[38:39], v[190:191]
	v_fmac_f64_e32 v[38:39], v[40:41], v[188:189]
	s_waitcnt vmcnt(0) lgkmcnt(12)
	v_mul_f64 v[40:41], v[198:199], v[194:195]
	v_fma_f64 v[44:45], v[196:197], v[192:193], -v[40:41]
	v_lshl_add_u64 v[40:41], s[6:7], 0, v[104:105]
	v_lshl_add_u64 v[42:43], v[40:41], 0, s[14:15]
	v_add_co_u32_e32 v40, vcc, s16, v40
	v_mul_f64 v[46:47], v[196:197], v[194:195]
	s_nop 0
	v_addc_co_u32_e32 v41, vcc, 0, v41, vcc
	v_fmac_f64_e32 v[46:47], v[198:199], v[192:193]
	global_load_dwordx4 v[200:203], v[40:41], off offset:1728
	global_load_dwordx4 v[196:199], v[42:43], off offset:16
	v_lshlrev_b32_e32 v104, 5, v250
	s_waitcnt vmcnt(1) lgkmcnt(10)
	v_mul_f64 v[40:41], v[34:35], v[202:203]
	v_fma_f64 v[248:249], v[32:33], v[200:201], -v[40:41]
	v_mul_f64 v[252:253], v[32:33], v[202:203]
	s_waitcnt vmcnt(0) lgkmcnt(9)
	v_mul_f64 v[32:33], v[30:31], v[198:199]
	v_fma_f64 v[254:255], v[28:29], v[196:197], -v[32:33]
	v_mul_f64 v[244:245], v[28:29], v[198:199]
	v_lshl_add_u64 v[28:29], s[6:7], 0, v[104:105]
	v_fmac_f64_e32 v[244:245], v[30:31], v[196:197]
	v_lshl_add_u64 v[30:31], v[28:29], 0, s[14:15]
	v_add_co_u32_e32 v28, vcc, s16, v28
	v_add_u32_e32 v104, 0x2ee0, v106
	s_nop 0
	v_addc_co_u32_e32 v29, vcc, 0, v29, vcc
	global_load_dwordx4 v[208:211], v[28:29], off offset:1728
	global_load_dwordx4 v[204:207], v[30:31], off offset:16
	v_fmac_f64_e32 v[252:253], v[34:35], v[200:201]
	s_waitcnt vmcnt(1) lgkmcnt(7)
	v_mul_f64 v[28:29], v[26:27], v[210:211]
	v_fma_f64 v[58:59], v[24:25], v[208:209], -v[28:29]
	v_mul_f64 v[250:251], v[24:25], v[210:211]
	s_waitcnt vmcnt(0) lgkmcnt(6)
	v_mul_f64 v[24:25], v[22:23], v[206:207]
	v_fma_f64 v[246:247], v[20:21], v[204:205], -v[24:25]
	v_mul_f64 v[56:57], v[20:21], v[206:207]
	v_lshl_add_u64 v[20:21], s[6:7], 0, v[104:105]
	v_fmac_f64_e32 v[56:57], v[22:23], v[204:205]
	v_lshl_add_u64 v[22:23], v[20:21], 0, s[14:15]
	v_add_co_u32_e32 v20, vcc, s16, v20
	v_add_u32_e32 v104, 0x3e80, v106
	s_nop 0
	v_addc_co_u32_e32 v21, vcc, 0, v21, vcc
	global_load_dwordx4 v[216:219], v[20:21], off offset:1728
	global_load_dwordx4 v[212:215], v[22:23], off offset:16
	v_fmac_f64_e32 v[250:251], v[26:27], v[208:209]
	s_waitcnt vmcnt(1) lgkmcnt(4)
	v_mul_f64 v[20:21], v[18:19], v[218:219]
	v_fma_f64 v[96:97], v[16:17], v[216:217], -v[20:21]
	v_mul_f64 v[98:99], v[16:17], v[218:219]
	s_waitcnt vmcnt(0) lgkmcnt(3)
	v_mul_f64 v[16:17], v[14:15], v[214:215]
	v_fma_f64 v[102:103], v[12:13], v[212:213], -v[16:17]
	v_mul_f64 v[100:101], v[12:13], v[214:215]
	v_lshl_add_u64 v[12:13], s[6:7], 0, v[104:105]
	v_fmac_f64_e32 v[100:101], v[14:15], v[212:213]
	v_lshl_add_u64 v[14:15], v[12:13], 0, s[14:15]
	v_add_co_u32_e32 v12, vcc, s16, v12
	s_mov_b32 s14, 0xe8584caa
	s_nop 0
	v_addc_co_u32_e32 v13, vcc, 0, v13, vcc
	global_load_dwordx4 v[224:227], v[12:13], off offset:1728
	global_load_dwordx4 v[220:223], v[14:15], off offset:16
	s_mov_b32 s15, 0x3febb67a
	s_mov_b32 s7, 0xbfebb67a
	;; [unrolled: 1-line block ×3, first 2 shown]
	v_fmac_f64_e32 v[98:99], v[18:19], v[216:217]
	s_mov_b64 s[16:17], 0x7530
	s_waitcnt vmcnt(1) lgkmcnt(1)
	v_mul_f64 v[12:13], v[10:11], v[226:227]
	v_fma_f64 v[104:105], v[8:9], v[224:225], -v[12:13]
	v_mul_f64 v[106:107], v[8:9], v[226:227]
	s_waitcnt vmcnt(0) lgkmcnt(0)
	v_mul_f64 v[8:9], v[6:7], v[222:223]
	v_fmac_f64_e32 v[106:107], v[10:11], v[224:225]
	v_fma_f64 v[8:9], v[4:5], v[220:221], -v[8:9]
	v_mul_f64 v[10:11], v[4:5], v[222:223]
	v_add_f64 v[4:5], v[0:1], v[36:37]
	v_add_f64 v[40:41], v[4:5], v[44:45]
	v_add_f64 v[4:5], v[36:37], v[44:45]
	v_fmac_f64_e32 v[0:1], -0.5, v[4:5]
	v_add_f64 v[4:5], v[38:39], -v[46:47]
	v_fma_f64 v[32:33], s[14:15], v[4:5], v[0:1]
	v_fmac_f64_e32 v[0:1], s[6:7], v[4:5]
	v_add_f64 v[4:5], v[2:3], v[38:39]
	v_add_f64 v[42:43], v[4:5], v[46:47]
	v_add_f64 v[4:5], v[38:39], v[46:47]
	v_fmac_f64_e32 v[2:3], -0.5, v[4:5]
	v_add_f64 v[4:5], v[36:37], -v[44:45]
	v_fma_f64 v[34:35], s[6:7], v[4:5], v[2:3]
	v_fmac_f64_e32 v[2:3], s[14:15], v[4:5]
	;; [unrolled: 7-line block ×8, first 2 shown]
	v_add_f64 v[4:5], v[228:229], v[104:105]
	v_fmac_f64_e32 v[10:11], v[6:7], v[220:221]
	v_add_f64 v[44:45], v[4:5], v[8:9]
	v_add_f64 v[4:5], v[104:105], v[8:9]
	v_fmac_f64_e32 v[228:229], -0.5, v[4:5]
	v_add_f64 v[6:7], v[106:107], -v[10:11]
	v_fma_f64 v[4:5], s[14:15], v[6:7], v[228:229]
	v_fmac_f64_e32 v[228:229], s[6:7], v[6:7]
	v_add_f64 v[6:7], v[230:231], v[106:107]
	v_add_f64 v[46:47], v[6:7], v[10:11]
	;; [unrolled: 1-line block ×3, first 2 shown]
	v_fmac_f64_e32 v[230:231], -0.5, v[6:7]
	v_add_f64 v[8:9], v[104:105], -v[8:9]
	v_fma_f64 v[6:7], s[6:7], v[8:9], v[230:231]
	v_fmac_f64_e32 v[230:231], s[14:15], v[8:9]
	ds_write_b128 v48, v[40:43]
	ds_write_b128 v48, v[32:35] offset:10000
	ds_write_b128 v48, v[0:3] offset:20000
	;; [unrolled: 1-line block ×14, first 2 shown]
	v_lshl_add_u64 v[0:1], v[50:51], 0, s[16:17]
	s_movk_i32 s16, 0x7000
	v_add_co_u32_e32 v6, vcc, s16, v50
	s_waitcnt lgkmcnt(0)
	s_nop 0
	v_addc_co_u32_e32 v7, vcc, 0, v51, vcc
	s_barrier
	global_load_dwordx4 v[6:9], v[6:7], off offset:1328
	ds_read_b128 v[2:5], v48
	s_mov_b32 s16, 0x8000
	s_waitcnt vmcnt(0) lgkmcnt(0)
	v_mul_f64 v[10:11], v[4:5], v[8:9]
	v_mul_f64 v[12:13], v[2:3], v[8:9]
	v_fma_f64 v[10:11], v[2:3], v[6:7], -v[10:11]
	v_fmac_f64_e32 v[12:13], v[4:5], v[6:7]
	v_add_co_u32_e32 v6, vcc, s16, v50
	ds_read_b128 v[2:5], v48 offset:6000
	s_nop 0
	v_addc_co_u32_e32 v7, vcc, 0, v51, vcc
	global_load_dwordx4 v[6:9], v[6:7], off offset:3232
	s_mov_b32 s16, 0xa000
	v_add_co_u32_e32 v16, vcc, s16, v50
	ds_write_b128 v48, v[10:13]
	s_nop 0
	v_addc_co_u32_e32 v17, vcc, 0, v51, vcc
	s_mov_b32 s16, 0xb000
	s_waitcnt vmcnt(0) lgkmcnt(1)
	v_mul_f64 v[10:11], v[4:5], v[8:9]
	v_mul_f64 v[12:13], v[2:3], v[8:9]
	v_fma_f64 v[10:11], v[2:3], v[6:7], -v[10:11]
	v_fmac_f64_e32 v[12:13], v[4:5], v[6:7]
	global_load_dwordx4 v[6:9], v[16:17], off offset:1040
	ds_read_b128 v[2:5], v48 offset:12000
	ds_write_b128 v48, v[10:13] offset:6000
	s_waitcnt vmcnt(0) lgkmcnt(1)
	v_mul_f64 v[10:11], v[4:5], v[8:9]
	v_mul_f64 v[12:13], v[2:3], v[8:9]
	v_fma_f64 v[10:11], v[2:3], v[6:7], -v[10:11]
	v_fmac_f64_e32 v[12:13], v[4:5], v[6:7]
	v_add_co_u32_e32 v6, vcc, s16, v50
	ds_write_b128 v48, v[10:13] offset:12000
	s_nop 0
	v_addc_co_u32_e32 v7, vcc, 0, v51, vcc
	global_load_dwordx4 v[8:11], v[6:7], off offset:2944
	ds_read_b128 v[2:5], v48 offset:18000
	s_mov_b32 s16, 0xd000
	v_add_co_u32_e32 v20, vcc, s16, v50
	s_mov_b32 s16, 0x9000
	s_nop 0
	v_addc_co_u32_e32 v21, vcc, 0, v51, vcc
	v_add_co_u32_e32 v22, vcc, s16, v50
	s_mov_b32 s16, 0xc000
	s_nop 0
	v_addc_co_u32_e32 v23, vcc, 0, v51, vcc
	s_waitcnt vmcnt(0) lgkmcnt(0)
	v_mul_f64 v[12:13], v[4:5], v[10:11]
	v_mul_f64 v[14:15], v[2:3], v[10:11]
	v_fma_f64 v[12:13], v[2:3], v[8:9], -v[12:13]
	v_fmac_f64_e32 v[14:15], v[4:5], v[8:9]
	global_load_dwordx4 v[8:11], v[20:21], off offset:752
	ds_read_b128 v[2:5], v48 offset:24000
	ds_write_b128 v48, v[12:15] offset:18000
	s_waitcnt vmcnt(0) lgkmcnt(1)
	v_mul_f64 v[12:13], v[4:5], v[10:11]
	v_mul_f64 v[14:15], v[2:3], v[10:11]
	v_fma_f64 v[12:13], v[2:3], v[8:9], -v[12:13]
	v_fmac_f64_e32 v[14:15], v[4:5], v[8:9]
	global_load_dwordx4 v[8:11], v[0:1], off offset:2000
	ds_read_b128 v[2:5], v48 offset:2000
	ds_write_b128 v48, v[12:15] offset:24000
	s_waitcnt vmcnt(0) lgkmcnt(1)
	v_mul_f64 v[12:13], v[4:5], v[10:11]
	v_mul_f64 v[14:15], v[2:3], v[10:11]
	v_fma_f64 v[12:13], v[2:3], v[8:9], -v[12:13]
	v_fmac_f64_e32 v[14:15], v[4:5], v[8:9]
	global_load_dwordx4 v[8:11], v[22:23], off offset:1136
	ds_read_b128 v[2:5], v48 offset:8000
	ds_write_b128 v48, v[12:15] offset:2000
	s_waitcnt vmcnt(0) lgkmcnt(1)
	v_mul_f64 v[12:13], v[4:5], v[10:11]
	v_mul_f64 v[14:15], v[2:3], v[10:11]
	v_fma_f64 v[12:13], v[2:3], v[8:9], -v[12:13]
	v_fmac_f64_e32 v[14:15], v[4:5], v[8:9]
	global_load_dwordx4 v[8:11], v[16:17], off offset:3040
	ds_read_b128 v[2:5], v48 offset:14000
	ds_write_b128 v48, v[12:15] offset:8000
	s_waitcnt vmcnt(0) lgkmcnt(1)
	v_mul_f64 v[14:15], v[2:3], v[10:11]
	v_mul_f64 v[12:13], v[4:5], v[10:11]
	v_fmac_f64_e32 v[14:15], v[4:5], v[8:9]
	v_add_co_u32_e32 v4, vcc, s16, v50
	v_fma_f64 v[12:13], v[2:3], v[8:9], -v[12:13]
	s_nop 0
	v_addc_co_u32_e32 v5, vcc, 0, v51, vcc
	ds_write_b128 v48, v[12:15] offset:14000
	global_load_dwordx4 v[12:15], v[4:5], off offset:848
	ds_read_b128 v[8:11], v48 offset:20000
	s_mov_b32 s16, 0xe000
	s_waitcnt vmcnt(0) lgkmcnt(0)
	v_mul_f64 v[2:3], v[10:11], v[14:15]
	v_mul_f64 v[18:19], v[8:9], v[14:15]
	v_fma_f64 v[16:17], v[8:9], v[12:13], -v[2:3]
	v_fmac_f64_e32 v[18:19], v[10:11], v[12:13]
	global_load_dwordx4 v[12:15], v[20:21], off offset:2752
	ds_read_b128 v[8:11], v48 offset:26000
	ds_write_b128 v48, v[16:19] offset:20000
	s_waitcnt vmcnt(0) lgkmcnt(1)
	v_mul_f64 v[2:3], v[10:11], v[14:15]
	v_fma_f64 v[16:17], v[8:9], v[12:13], -v[2:3]
	global_load_dwordx4 v[0:3], v[0:1], off offset:4000
	v_mul_f64 v[18:19], v[8:9], v[14:15]
	v_fmac_f64_e32 v[18:19], v[10:11], v[12:13]
	ds_read_b128 v[8:11], v48 offset:4000
	ds_write_b128 v48, v[16:19] offset:26000
	s_waitcnt vmcnt(0) lgkmcnt(1)
	v_mul_f64 v[12:13], v[10:11], v[2:3]
	v_mul_f64 v[14:15], v[8:9], v[2:3]
	v_fma_f64 v[12:13], v[8:9], v[0:1], -v[12:13]
	v_fmac_f64_e32 v[14:15], v[10:11], v[0:1]
	global_load_dwordx4 v[8:11], v[22:23], off offset:3136
	ds_read_b128 v[0:3], v48 offset:10000
	ds_write_b128 v48, v[12:15] offset:4000
	s_waitcnt vmcnt(0) lgkmcnt(1)
	v_mul_f64 v[12:13], v[2:3], v[10:11]
	v_mul_f64 v[14:15], v[0:1], v[10:11]
	v_fma_f64 v[12:13], v[0:1], v[8:9], -v[12:13]
	v_fmac_f64_e32 v[14:15], v[2:3], v[8:9]
	global_load_dwordx4 v[6:9], v[6:7], off offset:944
	;; [unrolled: 8-line block ×3, first 2 shown]
	ds_read_b128 v[0:3], v48 offset:22000
	ds_write_b128 v48, v[10:13] offset:16000
	s_waitcnt vmcnt(0) lgkmcnt(1)
	v_mul_f64 v[8:9], v[2:3], v[6:7]
	v_mul_f64 v[10:11], v[0:1], v[6:7]
	v_fma_f64 v[8:9], v[0:1], v[4:5], -v[8:9]
	v_fmac_f64_e32 v[10:11], v[2:3], v[4:5]
	v_add_co_u32_e32 v4, vcc, s16, v50
	ds_read_b128 v[0:3], v48 offset:28000
	s_nop 0
	v_addc_co_u32_e32 v5, vcc, 0, v51, vcc
	global_load_dwordx4 v[4:7], v[4:5], off offset:656
	ds_write_b128 v48, v[8:11] offset:22000
	s_waitcnt vmcnt(0) lgkmcnt(1)
	v_mul_f64 v[8:9], v[2:3], v[6:7]
	v_mul_f64 v[10:11], v[0:1], v[6:7]
	v_fma_f64 v[8:9], v[0:1], v[4:5], -v[8:9]
	v_fmac_f64_e32 v[10:11], v[2:3], v[4:5]
	ds_write_b128 v48, v[8:11] offset:28000
	s_waitcnt lgkmcnt(0)
	s_barrier
	ds_read_b128 v[236:239], v48
	ds_read_b128 v[8:11], v48 offset:6000
	ds_read_b128 v[40:43], v48 offset:12000
	;; [unrolled: 1-line block ×14, first 2 shown]
	s_waitcnt lgkmcnt(13)
	v_add_f64 v[28:29], v[236:237], v[8:9]
	s_waitcnt lgkmcnt(12)
	v_add_f64 v[28:29], v[28:29], v[40:41]
	;; [unrolled: 2-line block ×4, first 2 shown]
	v_add_f64 v[28:29], v[40:41], v[0:1]
	v_fma_f64 v[248:249], -0.5, v[28:29], v[236:237]
	v_add_f64 v[30:31], v[10:11], -v[6:7]
	v_fma_f64 v[28:29], s[12:13], v[30:31], v[248:249]
	v_add_f64 v[34:35], v[42:43], -v[2:3]
	v_add_f64 v[32:33], v[8:9], -v[40:41]
	;; [unrolled: 1-line block ×3, first 2 shown]
	v_fmac_f64_e32 v[248:249], s[2:3], v[30:31]
	v_fmac_f64_e32 v[28:29], s[10:11], v[34:35]
	v_add_f64 v[32:33], v[32:33], v[46:47]
	v_fmac_f64_e32 v[248:249], s[8:9], v[34:35]
	v_fmac_f64_e32 v[28:29], s[4:5], v[32:33]
	;; [unrolled: 1-line block ×3, first 2 shown]
	v_add_f64 v[32:33], v[8:9], v[4:5]
	v_fmac_f64_e32 v[236:237], -0.5, v[32:33]
	v_fma_f64 v[32:33], s[2:3], v[34:35], v[236:237]
	v_fmac_f64_e32 v[236:237], s[12:13], v[34:35]
	v_fmac_f64_e32 v[32:33], s[10:11], v[30:31]
	;; [unrolled: 1-line block ×3, first 2 shown]
	v_add_f64 v[30:31], v[238:239], v[10:11]
	v_add_f64 v[46:47], v[40:41], -v[8:9]
	v_add_f64 v[50:51], v[0:1], -v[4:5]
	v_add_f64 v[30:31], v[30:31], v[42:43]
	v_add_f64 v[46:47], v[46:47], v[50:51]
	;; [unrolled: 1-line block ×3, first 2 shown]
	v_fmac_f64_e32 v[32:33], s[4:5], v[46:47]
	v_fmac_f64_e32 v[236:237], s[4:5], v[46:47]
	v_add_f64 v[46:47], v[30:31], v[6:7]
	v_add_f64 v[30:31], v[42:43], v[2:3]
	v_fma_f64 v[250:251], -0.5, v[30:31], v[238:239]
	v_add_f64 v[4:5], v[8:9], -v[4:5]
	v_fma_f64 v[30:31], s[2:3], v[4:5], v[250:251]
	v_add_f64 v[0:1], v[40:41], -v[0:1]
	v_add_f64 v[8:9], v[10:11], -v[42:43]
	;; [unrolled: 1-line block ×3, first 2 shown]
	v_fmac_f64_e32 v[250:251], s[12:13], v[4:5]
	v_fmac_f64_e32 v[30:31], s[8:9], v[0:1]
	v_add_f64 v[8:9], v[8:9], v[34:35]
	v_fmac_f64_e32 v[250:251], s[10:11], v[0:1]
	v_fmac_f64_e32 v[30:31], s[4:5], v[8:9]
	;; [unrolled: 1-line block ×3, first 2 shown]
	v_add_f64 v[8:9], v[10:11], v[6:7]
	v_fmac_f64_e32 v[238:239], -0.5, v[8:9]
	v_fma_f64 v[34:35], s[12:13], v[0:1], v[238:239]
	v_fmac_f64_e32 v[238:239], s[2:3], v[0:1]
	s_waitcnt lgkmcnt(8)
	v_add_f64 v[0:1], v[232:233], v[16:17]
	s_waitcnt lgkmcnt(7)
	v_add_f64 v[0:1], v[0:1], v[12:13]
	v_add_f64 v[8:9], v[42:43], -v[10:11]
	v_add_f64 v[2:3], v[2:3], -v[6:7]
	s_waitcnt lgkmcnt(6)
	v_add_f64 v[0:1], v[0:1], v[24:25]
	v_fmac_f64_e32 v[34:35], s[8:9], v[4:5]
	v_add_f64 v[2:3], v[8:9], v[2:3]
	v_fmac_f64_e32 v[238:239], s[10:11], v[4:5]
	s_waitcnt lgkmcnt(5)
	v_add_f64 v[40:41], v[0:1], v[20:21]
	v_add_f64 v[0:1], v[12:13], v[24:25]
	v_fmac_f64_e32 v[34:35], s[4:5], v[2:3]
	v_fmac_f64_e32 v[238:239], s[4:5], v[2:3]
	v_fma_f64 v[0:1], -0.5, v[0:1], v[232:233]
	v_add_f64 v[2:3], v[18:19], -v[22:23]
	v_fma_f64 v[4:5], s[12:13], v[2:3], v[0:1]
	v_add_f64 v[6:7], v[14:15], -v[26:27]
	v_add_f64 v[8:9], v[16:17], -v[12:13]
	;; [unrolled: 1-line block ×3, first 2 shown]
	v_fmac_f64_e32 v[0:1], s[2:3], v[2:3]
	v_fmac_f64_e32 v[4:5], s[10:11], v[6:7]
	v_add_f64 v[8:9], v[8:9], v[10:11]
	v_fmac_f64_e32 v[0:1], s[8:9], v[6:7]
	v_fmac_f64_e32 v[4:5], s[4:5], v[8:9]
	;; [unrolled: 1-line block ×3, first 2 shown]
	v_add_f64 v[8:9], v[16:17], v[20:21]
	v_fmac_f64_e32 v[232:233], -0.5, v[8:9]
	v_fma_f64 v[8:9], s[2:3], v[6:7], v[232:233]
	v_fmac_f64_e32 v[232:233], s[12:13], v[6:7]
	v_fmac_f64_e32 v[8:9], s[10:11], v[2:3]
	;; [unrolled: 1-line block ×3, first 2 shown]
	v_add_f64 v[2:3], v[234:235], v[18:19]
	v_add_f64 v[2:3], v[2:3], v[14:15]
	v_add_f64 v[10:11], v[12:13], -v[16:17]
	v_add_f64 v[42:43], v[24:25], -v[20:21]
	v_add_f64 v[2:3], v[2:3], v[26:27]
	v_add_f64 v[10:11], v[10:11], v[42:43]
	v_add_f64 v[42:43], v[2:3], v[22:23]
	v_add_f64 v[2:3], v[14:15], v[26:27]
	v_fma_f64 v[2:3], -0.5, v[2:3], v[234:235]
	v_add_f64 v[16:17], v[16:17], -v[20:21]
	v_fmac_f64_e32 v[8:9], s[4:5], v[10:11]
	v_fmac_f64_e32 v[232:233], s[4:5], v[10:11]
	v_fma_f64 v[6:7], s[2:3], v[16:17], v[2:3]
	v_add_f64 v[12:13], v[12:13], -v[24:25]
	v_add_f64 v[10:11], v[18:19], -v[14:15]
	;; [unrolled: 1-line block ×3, first 2 shown]
	v_fmac_f64_e32 v[2:3], s[12:13], v[16:17]
	v_fmac_f64_e32 v[6:7], s[8:9], v[12:13]
	v_add_f64 v[10:11], v[10:11], v[20:21]
	v_fmac_f64_e32 v[2:3], s[10:11], v[12:13]
	v_fmac_f64_e32 v[6:7], s[4:5], v[10:11]
	;; [unrolled: 1-line block ×3, first 2 shown]
	v_add_f64 v[10:11], v[18:19], v[22:23]
	v_fmac_f64_e32 v[234:235], -0.5, v[10:11]
	v_fma_f64 v[10:11], s[12:13], v[12:13], v[234:235]
	v_fmac_f64_e32 v[234:235], s[2:3], v[12:13]
	s_waitcnt lgkmcnt(3)
	v_add_f64 v[12:13], v[228:229], v[252:253]
	s_waitcnt lgkmcnt(2)
	v_add_f64 v[12:13], v[12:13], v[36:37]
	v_add_f64 v[14:15], v[14:15], -v[18:19]
	v_add_f64 v[18:19], v[26:27], -v[22:23]
	s_waitcnt lgkmcnt(1)
	v_add_f64 v[12:13], v[12:13], v[240:241]
	v_fmac_f64_e32 v[10:11], s[8:9], v[16:17]
	v_add_f64 v[14:15], v[14:15], v[18:19]
	v_fmac_f64_e32 v[234:235], s[10:11], v[16:17]
	s_waitcnt lgkmcnt(0)
	v_add_f64 v[24:25], v[12:13], v[244:245]
	v_add_f64 v[12:13], v[36:37], v[240:241]
	v_fmac_f64_e32 v[10:11], s[4:5], v[14:15]
	v_fmac_f64_e32 v[234:235], s[4:5], v[14:15]
	v_fma_f64 v[12:13], -0.5, v[12:13], v[228:229]
	v_add_f64 v[14:15], v[254:255], -v[246:247]
	v_fma_f64 v[20:21], s[12:13], v[14:15], v[12:13]
	v_add_f64 v[18:19], v[38:39], -v[242:243]
	v_add_f64 v[16:17], v[252:253], -v[36:37]
	;; [unrolled: 1-line block ×3, first 2 shown]
	v_fmac_f64_e32 v[12:13], s[2:3], v[14:15]
	v_fmac_f64_e32 v[20:21], s[10:11], v[18:19]
	v_add_f64 v[16:17], v[16:17], v[22:23]
	v_fmac_f64_e32 v[12:13], s[8:9], v[18:19]
	v_fmac_f64_e32 v[20:21], s[4:5], v[16:17]
	;; [unrolled: 1-line block ×3, first 2 shown]
	v_add_f64 v[16:17], v[252:253], v[244:245]
	v_fmac_f64_e32 v[228:229], -0.5, v[16:17]
	v_fma_f64 v[16:17], s[2:3], v[18:19], v[228:229]
	v_fmac_f64_e32 v[228:229], s[12:13], v[18:19]
	v_fmac_f64_e32 v[16:17], s[10:11], v[14:15]
	;; [unrolled: 1-line block ×3, first 2 shown]
	v_add_f64 v[14:15], v[230:231], v[254:255]
	v_add_f64 v[14:15], v[14:15], v[38:39]
	v_add_f64 v[22:23], v[36:37], -v[252:253]
	v_add_f64 v[26:27], v[240:241], -v[244:245]
	v_add_f64 v[14:15], v[14:15], v[242:243]
	v_add_f64 v[22:23], v[22:23], v[26:27]
	;; [unrolled: 1-line block ×4, first 2 shown]
	v_fma_f64 v[14:15], -0.5, v[14:15], v[230:231]
	v_add_f64 v[50:51], v[252:253], -v[244:245]
	v_fmac_f64_e32 v[16:17], s[4:5], v[22:23]
	v_fmac_f64_e32 v[228:229], s[4:5], v[22:23]
	v_fma_f64 v[22:23], s[2:3], v[50:51], v[14:15]
	v_add_f64 v[36:37], v[36:37], -v[240:241]
	v_add_f64 v[18:19], v[254:255], -v[38:39]
	;; [unrolled: 1-line block ×3, first 2 shown]
	v_fmac_f64_e32 v[14:15], s[12:13], v[50:51]
	v_fmac_f64_e32 v[22:23], s[8:9], v[36:37]
	v_add_f64 v[18:19], v[18:19], v[56:57]
	v_fmac_f64_e32 v[14:15], s[10:11], v[36:37]
	v_fmac_f64_e32 v[22:23], s[4:5], v[18:19]
	;; [unrolled: 1-line block ×3, first 2 shown]
	v_add_f64 v[18:19], v[254:255], v[246:247]
	v_fmac_f64_e32 v[230:231], -0.5, v[18:19]
	v_fma_f64 v[18:19], s[12:13], v[36:37], v[230:231]
	v_add_f64 v[38:39], v[38:39], -v[254:255]
	v_add_f64 v[56:57], v[242:243], -v[246:247]
	v_fmac_f64_e32 v[230:231], s[2:3], v[36:37]
	v_fmac_f64_e32 v[18:19], s[8:9], v[50:51]
	v_add_f64 v[38:39], v[38:39], v[56:57]
	v_fmac_f64_e32 v[230:231], s[10:11], v[50:51]
	s_barrier
	ds_write_b128 v54, v[44:47]
	ds_write_b128 v54, v[28:31] offset:16
	ds_write_b128 v54, v[32:35] offset:32
	;; [unrolled: 1-line block ×4, first 2 shown]
	v_accvgpr_read_b32 v28, a80
	v_fmac_f64_e32 v[18:19], s[4:5], v[38:39]
	v_fmac_f64_e32 v[230:231], s[4:5], v[38:39]
	ds_write_b128 v28, v[40:43]
	ds_write_b128 v28, v[4:7] offset:16
	ds_write_b128 v28, v[8:11] offset:32
	;; [unrolled: 1-line block ×4, first 2 shown]
	v_accvgpr_read_b32 v0, a79
	ds_write_b128 v0, v[24:27]
	ds_write_b128 v0, v[20:23] offset:16
	ds_write_b128 v0, v[16:19] offset:32
	ds_write_b128 v0, v[228:231] offset:48
	ds_write_b128 v0, v[12:15] offset:64
	s_waitcnt lgkmcnt(0)
	s_barrier
	ds_read_b128 v[236:239], v48
	ds_read_b128 v[0:3], v48 offset:6000
	ds_read_b128 v[4:7], v48 offset:12000
	;; [unrolled: 1-line block ×14, first 2 shown]
	s_waitcnt lgkmcnt(13)
	v_mul_f64 v[50:51], v[122:123], v[2:3]
	v_fmac_f64_e32 v[50:51], v[120:121], v[0:1]
	v_mul_f64 v[0:1], v[122:123], v[0:1]
	v_fma_f64 v[56:57], v[120:121], v[2:3], -v[0:1]
	s_waitcnt lgkmcnt(12)
	v_mul_f64 v[0:1], v[118:119], v[4:5]
	v_fma_f64 v[96:97], v[116:117], v[6:7], -v[0:1]
	s_waitcnt lgkmcnt(11)
	;; [unrolled: 3-line block ×4, first 2 shown]
	v_mul_f64 v[106:107], v[138:139], v[18:19]
	v_mul_f64 v[0:1], v[138:139], v[16:17]
	;; [unrolled: 1-line block ×4, first 2 shown]
	v_fmac_f64_e32 v[106:107], v[136:137], v[16:17]
	v_fma_f64 v[18:19], v[136:137], v[18:19], -v[0:1]
	s_waitcnt lgkmcnt(7)
	v_mul_f64 v[136:137], v[134:135], v[22:23]
	v_mul_f64 v[0:1], v[134:135], v[20:21]
	v_fmac_f64_e32 v[58:59], v[116:117], v[4:5]
	v_fmac_f64_e32 v[98:99], v[112:113], v[8:9]
	;; [unrolled: 1-line block ×3, first 2 shown]
	v_fma_f64 v[20:21], v[132:133], v[22:23], -v[0:1]
	s_waitcnt lgkmcnt(6)
	v_mul_f64 v[22:23], v[130:131], v[26:27]
	v_mul_f64 v[0:1], v[130:131], v[24:25]
	;; [unrolled: 1-line block ×3, first 2 shown]
	v_fmac_f64_e32 v[22:23], v[128:129], v[24:25]
	v_fma_f64 v[24:25], v[128:129], v[26:27], -v[0:1]
	s_waitcnt lgkmcnt(5)
	v_mul_f64 v[26:27], v[126:127], v[30:31]
	v_mul_f64 v[0:1], v[126:127], v[28:29]
	v_add_f64 v[2:3], v[58:59], v[98:99]
	v_fmac_f64_e32 v[102:103], v[108:109], v[12:13]
	v_fmac_f64_e32 v[26:27], v[124:125], v[28:29]
	v_fma_f64 v[28:29], v[124:125], v[30:31], -v[0:1]
	s_waitcnt lgkmcnt(3)
	v_mul_f64 v[8:9], v[170:171], v[34:35]
	v_mul_f64 v[0:1], v[170:171], v[32:33]
	s_waitcnt lgkmcnt(2)
	v_mul_f64 v[12:13], v[166:167], v[38:39]
	v_fma_f64 v[108:109], -0.5, v[2:3], v[236:237]
	v_add_f64 v[2:3], v[56:57], -v[104:105]
	v_fmac_f64_e32 v[8:9], v[168:169], v[32:33]
	v_fma_f64 v[4:5], v[168:169], v[34:35], -v[0:1]
	v_fmac_f64_e32 v[12:13], v[164:165], v[36:37]
	v_mul_f64 v[0:1], v[166:167], v[36:37]
	v_fma_f64 v[132:133], s[12:13], v[2:3], v[108:109]
	v_add_f64 v[32:33], v[96:97], -v[100:101]
	v_add_f64 v[34:35], v[50:51], -v[58:59]
	;; [unrolled: 1-line block ×3, first 2 shown]
	v_fmac_f64_e32 v[108:109], s[2:3], v[2:3]
	v_fma_f64 v[6:7], v[164:165], v[38:39], -v[0:1]
	s_waitcnt lgkmcnt(1)
	v_mul_f64 v[0:1], v[158:159], v[40:41]
	v_fmac_f64_e32 v[132:133], s[10:11], v[32:33]
	v_add_f64 v[34:35], v[34:35], v[36:37]
	v_fmac_f64_e32 v[108:109], s[8:9], v[32:33]
	v_fma_f64 v[10:11], v[156:157], v[42:43], -v[0:1]
	s_waitcnt lgkmcnt(0)
	v_mul_f64 v[0:1], v[154:155], v[44:45]
	v_fmac_f64_e32 v[132:133], s[4:5], v[34:35]
	v_fmac_f64_e32 v[108:109], s[4:5], v[34:35]
	v_add_f64 v[34:35], v[50:51], v[102:103]
	v_fma_f64 v[14:15], v[152:153], v[46:47], -v[0:1]
	v_add_f64 v[0:1], v[236:237], v[50:51]
	v_fmac_f64_e32 v[236:237], -0.5, v[34:35]
	v_fma_f64 v[124:125], s[2:3], v[32:33], v[236:237]
	v_add_f64 v[34:35], v[58:59], -v[50:51]
	v_add_f64 v[36:37], v[98:99], -v[102:103]
	v_fmac_f64_e32 v[236:237], s[12:13], v[32:33]
	v_add_f64 v[32:33], v[96:97], v[100:101]
	v_fmac_f64_e32 v[124:125], s[10:11], v[2:3]
	v_add_f64 v[34:35], v[34:35], v[36:37]
	v_fmac_f64_e32 v[236:237], s[8:9], v[2:3]
	v_fma_f64 v[110:111], -0.5, v[32:33], v[238:239]
	v_add_f64 v[32:33], v[50:51], -v[102:103]
	v_fmac_f64_e32 v[124:125], s[4:5], v[34:35]
	v_fmac_f64_e32 v[236:237], s[4:5], v[34:35]
	v_fma_f64 v[134:135], s[2:3], v[32:33], v[110:111]
	v_add_f64 v[34:35], v[58:59], -v[98:99]
	v_add_f64 v[36:37], v[56:57], -v[96:97]
	;; [unrolled: 1-line block ×3, first 2 shown]
	v_fmac_f64_e32 v[110:111], s[12:13], v[32:33]
	v_fmac_f64_e32 v[134:135], s[8:9], v[34:35]
	v_add_f64 v[36:37], v[36:37], v[38:39]
	v_fmac_f64_e32 v[110:111], s[10:11], v[34:35]
	v_fmac_f64_e32 v[134:135], s[4:5], v[36:37]
	v_fmac_f64_e32 v[110:111], s[4:5], v[36:37]
	v_add_f64 v[36:37], v[56:57], v[104:105]
	v_add_f64 v[2:3], v[238:239], v[56:57]
	v_fmac_f64_e32 v[238:239], -0.5, v[36:37]
	v_fma_f64 v[126:127], s[12:13], v[34:35], v[238:239]
	v_fmac_f64_e32 v[238:239], s[2:3], v[34:35]
	v_fmac_f64_e32 v[126:127], s[8:9], v[32:33]
	;; [unrolled: 1-line block ×3, first 2 shown]
	v_add_f64 v[32:33], v[232:233], v[106:107]
	v_add_f64 v[32:33], v[32:33], v[136:137]
	;; [unrolled: 1-line block ×3, first 2 shown]
	v_add_f64 v[36:37], v[96:97], -v[56:57]
	v_add_f64 v[38:39], v[100:101], -v[104:105]
	v_add_f64 v[120:121], v[32:33], v[26:27]
	v_add_f64 v[32:33], v[136:137], v[22:23]
	;; [unrolled: 1-line block ×3, first 2 shown]
	v_fma_f64 v[112:113], -0.5, v[32:33], v[232:233]
	v_add_f64 v[32:33], v[18:19], -v[28:29]
	v_fmac_f64_e32 v[126:127], s[4:5], v[36:37]
	v_fmac_f64_e32 v[238:239], s[4:5], v[36:37]
	v_fma_f64 v[116:117], s[12:13], v[32:33], v[112:113]
	v_add_f64 v[34:35], v[20:21], -v[24:25]
	v_add_f64 v[36:37], v[106:107], -v[136:137]
	;; [unrolled: 1-line block ×3, first 2 shown]
	v_fmac_f64_e32 v[112:113], s[2:3], v[32:33]
	v_fmac_f64_e32 v[116:117], s[10:11], v[34:35]
	v_add_f64 v[36:37], v[36:37], v[38:39]
	v_fmac_f64_e32 v[112:113], s[8:9], v[34:35]
	v_fmac_f64_e32 v[116:117], s[4:5], v[36:37]
	;; [unrolled: 1-line block ×3, first 2 shown]
	v_add_f64 v[36:37], v[106:107], v[26:27]
	v_fmac_f64_e32 v[232:233], -0.5, v[36:37]
	v_fma_f64 v[128:129], s[2:3], v[34:35], v[232:233]
	v_fmac_f64_e32 v[232:233], s[12:13], v[34:35]
	v_fmac_f64_e32 v[128:129], s[10:11], v[32:33]
	;; [unrolled: 1-line block ×3, first 2 shown]
	v_add_f64 v[32:33], v[234:235], v[18:19]
	v_add_f64 v[32:33], v[32:33], v[20:21]
	;; [unrolled: 1-line block ×5, first 2 shown]
	v_add_f64 v[38:39], v[22:23], -v[26:27]
	v_fma_f64 v[114:115], -0.5, v[32:33], v[234:235]
	v_add_f64 v[26:27], v[106:107], -v[26:27]
	v_fma_f64 v[118:119], s[2:3], v[26:27], v[114:115]
	v_add_f64 v[22:23], v[136:137], -v[22:23]
	v_add_f64 v[32:33], v[18:19], -v[20:21]
	;; [unrolled: 1-line block ×3, first 2 shown]
	v_fmac_f64_e32 v[114:115], s[12:13], v[26:27]
	v_fmac_f64_e32 v[118:119], s[8:9], v[22:23]
	v_add_f64 v[32:33], v[32:33], v[34:35]
	v_fmac_f64_e32 v[114:115], s[10:11], v[22:23]
	v_fmac_f64_e32 v[118:119], s[4:5], v[32:33]
	;; [unrolled: 1-line block ×3, first 2 shown]
	v_add_f64 v[32:33], v[18:19], v[28:29]
	v_fmac_f64_e32 v[234:235], -0.5, v[32:33]
	v_fma_f64 v[130:131], s[12:13], v[22:23], v[234:235]
	v_add_f64 v[18:19], v[20:21], -v[18:19]
	v_add_f64 v[20:21], v[24:25], -v[28:29]
	v_fmac_f64_e32 v[234:235], s[2:3], v[22:23]
	v_fmac_f64_e32 v[130:131], s[8:9], v[26:27]
	v_add_f64 v[18:19], v[18:19], v[20:21]
	v_fmac_f64_e32 v[234:235], s[10:11], v[26:27]
	v_mul_f64 v[16:17], v[158:159], v[42:43]
	v_fmac_f64_e32 v[130:131], s[4:5], v[18:19]
	v_fmac_f64_e32 v[234:235], s[4:5], v[18:19]
	v_add_f64 v[18:19], v[228:229], v[8:9]
	v_fmac_f64_e32 v[16:17], v[156:157], v[40:41]
	v_mul_f64 v[30:31], v[154:155], v[46:47]
	v_add_f64 v[18:19], v[18:19], v[12:13]
	v_fmac_f64_e32 v[30:31], v[152:153], v[44:45]
	v_add_f64 v[18:19], v[18:19], v[16:17]
	v_add_f64 v[156:157], v[18:19], v[30:31]
	;; [unrolled: 1-line block ×3, first 2 shown]
	v_add_f64 v[36:37], v[136:137], -v[106:107]
	v_fma_f64 v[136:137], -0.5, v[18:19], v[228:229]
	v_add_f64 v[18:19], v[4:5], -v[14:15]
	v_fma_f64 v[152:153], s[12:13], v[18:19], v[136:137]
	v_add_f64 v[20:21], v[6:7], -v[10:11]
	v_add_f64 v[22:23], v[8:9], -v[12:13]
	;; [unrolled: 1-line block ×3, first 2 shown]
	v_fmac_f64_e32 v[136:137], s[2:3], v[18:19]
	v_fmac_f64_e32 v[152:153], s[10:11], v[20:21]
	v_add_f64 v[22:23], v[22:23], v[24:25]
	v_fmac_f64_e32 v[136:137], s[8:9], v[20:21]
	v_fmac_f64_e32 v[152:153], s[4:5], v[22:23]
	;; [unrolled: 1-line block ×3, first 2 shown]
	v_add_f64 v[22:23], v[8:9], v[30:31]
	v_fmac_f64_e32 v[228:229], -0.5, v[22:23]
	v_fma_f64 v[164:165], s[2:3], v[20:21], v[228:229]
	v_fmac_f64_e32 v[228:229], s[12:13], v[20:21]
	v_fmac_f64_e32 v[164:165], s[10:11], v[18:19]
	;; [unrolled: 1-line block ×3, first 2 shown]
	v_add_f64 v[18:19], v[230:231], v[4:5]
	v_add_f64 v[18:19], v[18:19], v[6:7]
	;; [unrolled: 1-line block ×5, first 2 shown]
	v_add_f64 v[22:23], v[12:13], -v[8:9]
	v_fma_f64 v[138:139], -0.5, v[18:19], v[230:231]
	v_add_f64 v[8:9], v[8:9], -v[30:31]
	v_add_f64 v[24:25], v[16:17], -v[30:31]
	v_fma_f64 v[154:155], s[2:3], v[8:9], v[138:139]
	v_add_f64 v[12:13], v[12:13], -v[16:17]
	v_add_f64 v[16:17], v[4:5], -v[6:7]
	;; [unrolled: 1-line block ×3, first 2 shown]
	v_fmac_f64_e32 v[138:139], s[12:13], v[8:9]
	v_fmac_f64_e32 v[154:155], s[8:9], v[12:13]
	v_add_f64 v[16:17], v[16:17], v[18:19]
	v_fmac_f64_e32 v[138:139], s[10:11], v[12:13]
	v_fmac_f64_e32 v[154:155], s[4:5], v[16:17]
	;; [unrolled: 1-line block ×3, first 2 shown]
	v_add_f64 v[16:17], v[4:5], v[14:15]
	v_fmac_f64_e32 v[230:231], -0.5, v[16:17]
	v_add_f64 v[0:1], v[0:1], v[58:59]
	v_add_f64 v[2:3], v[2:3], v[96:97]
	v_fma_f64 v[166:167], s[12:13], v[12:13], v[230:231]
	v_add_f64 v[4:5], v[6:7], -v[4:5]
	v_add_f64 v[6:7], v[10:11], -v[14:15]
	v_fmac_f64_e32 v[230:231], s[2:3], v[12:13]
	v_add_f64 v[0:1], v[0:1], v[98:99]
	v_add_f64 v[2:3], v[2:3], v[100:101]
	v_fmac_f64_e32 v[166:167], s[8:9], v[8:9]
	v_add_f64 v[4:5], v[4:5], v[6:7]
	v_fmac_f64_e32 v[230:231], s[10:11], v[8:9]
	v_add_f64 v[0:1], v[0:1], v[102:103]
	v_add_f64 v[2:3], v[2:3], v[104:105]
	v_fmac_f64_e32 v[166:167], s[4:5], v[4:5]
	v_fmac_f64_e32 v[230:231], s[4:5], v[4:5]
	v_accvgpr_read_b32 v4, a78
	s_barrier
	ds_write_b128 v4, v[0:3]
	v_accvgpr_read_b32 v0, a78
	v_add_f64 v[36:37], v[36:37], v[38:39]
	ds_write_b128 v0, v[132:135] offset:80
	ds_write_b128 v0, v[124:127] offset:160
	;; [unrolled: 1-line block ×4, first 2 shown]
	v_accvgpr_read_b32 v0, a64
	v_fmac_f64_e32 v[128:129], s[4:5], v[36:37]
	v_fmac_f64_e32 v[232:233], s[4:5], v[36:37]
	v_add_f64 v[22:23], v[22:23], v[24:25]
	ds_write_b128 v0, v[120:123]
	ds_write_b128 v0, v[116:119] offset:80
	ds_write_b128 v0, v[128:131] offset:160
	;; [unrolled: 1-line block ×4, first 2 shown]
	v_accvgpr_read_b32 v0, a65
	v_fmac_f64_e32 v[164:165], s[4:5], v[22:23]
	v_fmac_f64_e32 v[228:229], s[4:5], v[22:23]
	ds_write_b128 v0, v[156:159]
	ds_write_b128 v0, v[152:155] offset:80
	ds_write_b128 v0, v[164:167] offset:160
	;; [unrolled: 1-line block ×4, first 2 shown]
	s_waitcnt lgkmcnt(0)
	s_barrier
	ds_read_b128 v[0:3], v48
	ds_read_b128 v[12:15], v48 offset:6000
	ds_read_b128 v[16:19], v48 offset:12000
	;; [unrolled: 1-line block ×14, first 2 shown]
	s_waitcnt lgkmcnt(13)
	v_mul_f64 v[50:51], v[74:75], v[14:15]
	v_fmac_f64_e32 v[50:51], v[72:73], v[12:13]
	v_mul_f64 v[12:13], v[74:75], v[12:13]
	v_fma_f64 v[56:57], v[72:73], v[14:15], -v[12:13]
	v_accvgpr_read_b32 v72, a74
	v_accvgpr_read_b32 v74, a76
	;; [unrolled: 1-line block ×4, first 2 shown]
	s_waitcnt lgkmcnt(12)
	v_mul_f64 v[58:59], v[74:75], v[18:19]
	v_fmac_f64_e32 v[58:59], v[72:73], v[16:17]
	v_mul_f64 v[12:13], v[74:75], v[16:17]
	v_accvgpr_read_b32 v14, a70
	v_accvgpr_read_b32 v16, a72
	;; [unrolled: 1-line block ×3, first 2 shown]
	v_fma_f64 v[72:73], v[72:73], v[18:19], -v[12:13]
	v_accvgpr_read_b32 v15, a71
	s_waitcnt lgkmcnt(11)
	v_mul_f64 v[74:75], v[16:17], v[22:23]
	v_mul_f64 v[12:13], v[16:17], v[20:21]
	v_fmac_f64_e32 v[74:75], v[14:15], v[20:21]
	v_fma_f64 v[96:97], v[14:15], v[22:23], -v[12:13]
	v_accvgpr_read_b32 v14, a66
	v_accvgpr_read_b32 v16, a68
	;; [unrolled: 1-line block ×4, first 2 shown]
	s_waitcnt lgkmcnt(10)
	v_mul_f64 v[12:13], v[16:17], v[24:25]
	v_fma_f64 v[98:99], v[14:15], v[26:27], -v[12:13]
	s_waitcnt lgkmcnt(8)
	v_mul_f64 v[100:101], v[90:91], v[30:31]
	v_mul_f64 v[12:13], v[90:91], v[28:29]
	v_fmac_f64_e32 v[100:101], v[88:89], v[28:29]
	v_fma_f64 v[88:89], v[88:89], v[30:31], -v[12:13]
	s_waitcnt lgkmcnt(7)
	v_mul_f64 v[90:91], v[86:87], v[34:35]
	v_mul_f64 v[12:13], v[86:87], v[32:33]
	v_fmac_f64_e32 v[90:91], v[84:85], v[32:33]
	;; [unrolled: 5-line block ×4, first 2 shown]
	v_fma_f64 v[76:77], v[76:77], v[42:43], -v[12:13]
	s_waitcnt lgkmcnt(3)
	v_mul_f64 v[12:13], v[62:63], v[44:45]
	v_fma_f64 v[28:29], v[60:61], v[46:47], -v[12:13]
	s_waitcnt lgkmcnt(2)
	v_mul_f64 v[12:13], v[66:67], v[108:109]
	;; [unrolled: 3-line block ×4, first 2 shown]
	v_fma_f64 v[34:35], v[92:93], v[118:119], -v[12:13]
	v_add_f64 v[12:13], v[0:1], v[50:51]
	v_mul_f64 v[22:23], v[16:17], v[26:27]
	v_add_f64 v[12:13], v[12:13], v[58:59]
	v_fmac_f64_e32 v[22:23], v[14:15], v[24:25]
	v_add_f64 v[12:13], v[12:13], v[74:75]
	v_add_f64 v[16:17], v[12:13], v[22:23]
	;; [unrolled: 1-line block ×3, first 2 shown]
	v_fma_f64 v[12:13], -0.5, v[12:13], v[0:1]
	v_add_f64 v[14:15], v[56:57], -v[98:99]
	v_fma_f64 v[20:21], s[12:13], v[14:15], v[12:13]
	v_add_f64 v[18:19], v[72:73], -v[96:97]
	v_add_f64 v[24:25], v[50:51], -v[58:59]
	;; [unrolled: 1-line block ×3, first 2 shown]
	v_fmac_f64_e32 v[12:13], s[2:3], v[14:15]
	v_fmac_f64_e32 v[20:21], s[10:11], v[18:19]
	v_add_f64 v[24:25], v[24:25], v[26:27]
	v_fmac_f64_e32 v[12:13], s[8:9], v[18:19]
	v_fmac_f64_e32 v[20:21], s[4:5], v[24:25]
	;; [unrolled: 1-line block ×3, first 2 shown]
	v_add_f64 v[24:25], v[50:51], v[22:23]
	v_fmac_f64_e32 v[0:1], -0.5, v[24:25]
	v_fma_f64 v[24:25], s[2:3], v[18:19], v[0:1]
	v_fmac_f64_e32 v[0:1], s[12:13], v[18:19]
	v_fmac_f64_e32 v[24:25], s[10:11], v[14:15]
	;; [unrolled: 1-line block ×3, first 2 shown]
	v_add_f64 v[14:15], v[2:3], v[56:57]
	v_add_f64 v[14:15], v[14:15], v[72:73]
	v_mul_f64 v[36:37], v[62:63], v[46:47]
	v_add_f64 v[14:15], v[14:15], v[96:97]
	v_fmac_f64_e32 v[36:37], v[60:61], v[44:45]
	v_add_f64 v[26:27], v[58:59], -v[50:51]
	v_add_f64 v[44:45], v[74:75], -v[22:23]
	v_add_f64 v[18:19], v[14:15], v[98:99]
	v_add_f64 v[14:15], v[72:73], v[96:97]
	;; [unrolled: 1-line block ×3, first 2 shown]
	v_fma_f64 v[14:15], -0.5, v[14:15], v[2:3]
	v_add_f64 v[44:45], v[50:51], -v[22:23]
	v_fmac_f64_e32 v[24:25], s[4:5], v[26:27]
	v_fmac_f64_e32 v[0:1], s[4:5], v[26:27]
	v_fma_f64 v[22:23], s[2:3], v[44:45], v[14:15]
	v_add_f64 v[46:47], v[58:59], -v[74:75]
	v_add_f64 v[26:27], v[56:57], -v[72:73]
	;; [unrolled: 1-line block ×3, first 2 shown]
	v_fmac_f64_e32 v[14:15], s[12:13], v[44:45]
	v_fmac_f64_e32 v[22:23], s[8:9], v[46:47]
	v_add_f64 v[26:27], v[26:27], v[50:51]
	v_fmac_f64_e32 v[14:15], s[10:11], v[46:47]
	v_fmac_f64_e32 v[22:23], s[4:5], v[26:27]
	;; [unrolled: 1-line block ×3, first 2 shown]
	v_add_f64 v[26:27], v[56:57], v[98:99]
	v_fmac_f64_e32 v[2:3], -0.5, v[26:27]
	v_fma_f64 v[26:27], s[12:13], v[46:47], v[2:3]
	v_add_f64 v[50:51], v[72:73], -v[56:57]
	v_add_f64 v[56:57], v[96:97], -v[98:99]
	v_fmac_f64_e32 v[2:3], s[2:3], v[46:47]
	v_add_f64 v[46:47], v[90:91], v[86:87]
	v_mul_f64 v[38:39], v[66:67], v[110:111]
	v_fmac_f64_e32 v[26:27], s[8:9], v[44:45]
	v_add_f64 v[50:51], v[50:51], v[56:57]
	v_fmac_f64_e32 v[2:3], s[10:11], v[44:45]
	v_fma_f64 v[60:61], -0.5, v[46:47], v[4:5]
	v_add_f64 v[46:47], v[88:89], -v[76:77]
	v_fmac_f64_e32 v[38:39], v[64:65], v[108:109]
	v_fmac_f64_e32 v[26:27], s[4:5], v[50:51]
	;; [unrolled: 1-line block ×3, first 2 shown]
	v_fma_f64 v[64:65], s[12:13], v[46:47], v[60:61]
	v_add_f64 v[50:51], v[84:85], -v[80:81]
	v_add_f64 v[56:57], v[100:101], -v[90:91]
	;; [unrolled: 1-line block ×3, first 2 shown]
	v_fmac_f64_e32 v[60:61], s[2:3], v[46:47]
	v_fmac_f64_e32 v[64:65], s[10:11], v[50:51]
	v_add_f64 v[56:57], v[56:57], v[58:59]
	v_fmac_f64_e32 v[60:61], s[8:9], v[50:51]
	v_fmac_f64_e32 v[64:65], s[4:5], v[56:57]
	;; [unrolled: 1-line block ×3, first 2 shown]
	v_add_f64 v[56:57], v[100:101], v[82:83]
	v_mul_f64 v[40:41], v[70:71], v[114:115]
	v_add_f64 v[44:45], v[4:5], v[100:101]
	v_fmac_f64_e32 v[4:5], -0.5, v[56:57]
	v_fmac_f64_e32 v[40:41], v[68:69], v[112:113]
	v_fma_f64 v[68:69], s[2:3], v[50:51], v[4:5]
	v_add_f64 v[56:57], v[90:91], -v[100:101]
	v_add_f64 v[58:59], v[86:87], -v[82:83]
	v_fmac_f64_e32 v[4:5], s[12:13], v[50:51]
	v_add_f64 v[50:51], v[84:85], v[80:81]
	v_fmac_f64_e32 v[68:69], s[10:11], v[46:47]
	v_add_f64 v[56:57], v[56:57], v[58:59]
	v_fmac_f64_e32 v[4:5], s[8:9], v[46:47]
	v_fma_f64 v[62:63], -0.5, v[50:51], v[6:7]
	v_add_f64 v[50:51], v[100:101], -v[82:83]
	v_fmac_f64_e32 v[68:69], s[4:5], v[56:57]
	v_fmac_f64_e32 v[4:5], s[4:5], v[56:57]
	v_fma_f64 v[66:67], s[2:3], v[50:51], v[62:63]
	v_add_f64 v[56:57], v[90:91], -v[86:87]
	v_add_f64 v[58:59], v[88:89], -v[84:85]
	;; [unrolled: 1-line block ×3, first 2 shown]
	v_fmac_f64_e32 v[62:63], s[12:13], v[50:51]
	v_fmac_f64_e32 v[66:67], s[8:9], v[56:57]
	v_add_f64 v[58:59], v[58:59], v[70:71]
	v_fmac_f64_e32 v[62:63], s[10:11], v[56:57]
	v_fmac_f64_e32 v[66:67], s[4:5], v[58:59]
	;; [unrolled: 1-line block ×3, first 2 shown]
	v_add_f64 v[58:59], v[88:89], v[76:77]
	v_add_f64 v[46:47], v[6:7], v[88:89]
	v_fmac_f64_e32 v[6:7], -0.5, v[58:59]
	v_fma_f64 v[70:71], s[12:13], v[56:57], v[6:7]
	v_fmac_f64_e32 v[6:7], s[2:3], v[56:57]
	v_fmac_f64_e32 v[70:71], s[8:9], v[50:51]
	;; [unrolled: 1-line block ×3, first 2 shown]
	v_add_f64 v[50:51], v[8:9], v[36:37]
	v_mul_f64 v[42:43], v[94:95], v[118:119]
	v_add_f64 v[50:51], v[50:51], v[38:39]
	v_fmac_f64_e32 v[42:43], v[92:93], v[116:117]
	v_add_f64 v[46:47], v[46:47], v[84:85]
	v_add_f64 v[58:59], v[84:85], -v[88:89]
	v_add_f64 v[72:73], v[80:81], -v[76:77]
	v_add_f64 v[50:51], v[50:51], v[40:41]
	v_add_f64 v[46:47], v[46:47], v[80:81]
	;; [unrolled: 1-line block ×6, first 2 shown]
	v_fma_f64 v[76:77], -0.5, v[50:51], v[8:9]
	v_add_f64 v[50:51], v[28:29], -v[34:35]
	v_fmac_f64_e32 v[70:71], s[4:5], v[58:59]
	v_fmac_f64_e32 v[6:7], s[4:5], v[58:59]
	v_fma_f64 v[80:81], s[12:13], v[50:51], v[76:77]
	v_add_f64 v[56:57], v[30:31], -v[32:33]
	v_add_f64 v[58:59], v[36:37], -v[38:39]
	;; [unrolled: 1-line block ×3, first 2 shown]
	v_fmac_f64_e32 v[76:77], s[2:3], v[50:51]
	v_fmac_f64_e32 v[80:81], s[10:11], v[56:57]
	v_add_f64 v[58:59], v[58:59], v[74:75]
	v_fmac_f64_e32 v[76:77], s[8:9], v[56:57]
	v_fmac_f64_e32 v[80:81], s[4:5], v[58:59]
	;; [unrolled: 1-line block ×3, first 2 shown]
	v_add_f64 v[58:59], v[36:37], v[42:43]
	v_fmac_f64_e32 v[8:9], -0.5, v[58:59]
	v_fma_f64 v[84:85], s[2:3], v[56:57], v[8:9]
	v_fmac_f64_e32 v[8:9], s[12:13], v[56:57]
	v_fmac_f64_e32 v[84:85], s[10:11], v[50:51]
	;; [unrolled: 1-line block ×3, first 2 shown]
	v_add_f64 v[50:51], v[10:11], v[28:29]
	v_add_f64 v[50:51], v[50:51], v[30:31]
	v_add_f64 v[58:59], v[38:39], -v[36:37]
	v_add_f64 v[74:75], v[40:41], -v[42:43]
	v_add_f64 v[50:51], v[50:51], v[32:33]
	v_add_f64 v[44:45], v[44:45], v[90:91]
	;; [unrolled: 1-line block ×6, first 2 shown]
	v_fma_f64 v[78:79], -0.5, v[50:51], v[10:11]
	v_add_f64 v[36:37], v[36:37], -v[42:43]
	v_add_f64 v[44:45], v[44:45], v[82:83]
	v_fma_f64 v[82:83], s[2:3], v[36:37], v[78:79]
	v_add_f64 v[38:39], v[38:39], -v[40:41]
	v_add_f64 v[40:41], v[28:29], -v[30:31]
	;; [unrolled: 1-line block ×3, first 2 shown]
	v_fmac_f64_e32 v[78:79], s[12:13], v[36:37]
	v_fmac_f64_e32 v[82:83], s[8:9], v[38:39]
	v_add_f64 v[40:41], v[40:41], v[42:43]
	v_fmac_f64_e32 v[78:79], s[10:11], v[38:39]
	v_fmac_f64_e32 v[82:83], s[4:5], v[40:41]
	;; [unrolled: 1-line block ×3, first 2 shown]
	v_add_f64 v[40:41], v[28:29], v[34:35]
	v_fmac_f64_e32 v[10:11], -0.5, v[40:41]
	v_fma_f64 v[86:87], s[12:13], v[38:39], v[10:11]
	v_add_f64 v[28:29], v[30:31], -v[28:29]
	v_add_f64 v[30:31], v[32:33], -v[34:35]
	v_fmac_f64_e32 v[10:11], s[2:3], v[38:39]
	v_fmac_f64_e32 v[86:87], s[8:9], v[36:37]
	v_add_f64 v[28:29], v[28:29], v[30:31]
	v_fmac_f64_e32 v[10:11], s[10:11], v[36:37]
	v_fmac_f64_e32 v[86:87], s[4:5], v[28:29]
	;; [unrolled: 1-line block ×3, first 2 shown]
	v_accvgpr_read_b32 v28, a81
	v_fmac_f64_e32 v[8:9], s[4:5], v[58:59]
	s_barrier
	ds_write_b128 v28, v[16:19]
	ds_write_b128 v28, v[20:23] offset:400
	ds_write_b128 v28, v[24:27] offset:800
	;; [unrolled: 1-line block ×4, first 2 shown]
	v_accvgpr_read_b32 v0, a82
	v_fmac_f64_e32 v[84:85], s[4:5], v[58:59]
	ds_write_b128 v0, v[44:47]
	ds_write_b128 v0, v[64:67] offset:400
	ds_write_b128 v0, v[68:71] offset:800
	;; [unrolled: 1-line block ×4, first 2 shown]
	ds_write_b128 v55, v[72:75]
	ds_write_b128 v55, v[80:83] offset:400
	ds_write_b128 v55, v[84:87] offset:800
	;; [unrolled: 1-line block ×4, first 2 shown]
	s_waitcnt lgkmcnt(0)
	s_barrier
	ds_read_b128 v[0:3], v48
	ds_read_b128 v[12:15], v48 offset:6000
	ds_read_b128 v[16:19], v48 offset:12000
	;; [unrolled: 1-line block ×14, first 2 shown]
	s_waitcnt lgkmcnt(13)
	v_mul_f64 v[50:51], v[162:163], v[14:15]
	v_fmac_f64_e32 v[50:51], v[160:161], v[12:13]
	v_mul_f64 v[12:13], v[162:163], v[12:13]
	v_fma_f64 v[54:55], v[160:161], v[14:15], -v[12:13]
	s_waitcnt lgkmcnt(12)
	v_mul_f64 v[12:13], v[150:151], v[16:17]
	v_fma_f64 v[58:59], v[148:149], v[18:19], -v[12:13]
	s_waitcnt lgkmcnt(11)
	;; [unrolled: 3-line block ×7, first 2 shown]
	v_mul_f64 v[12:13], v[142:143], v[40:41]
	v_mul_f64 v[78:79], v[162:163], v[30:31]
	v_fma_f64 v[92:93], v[140:141], v[42:43], -v[12:13]
	s_waitcnt lgkmcnt(3)
	v_mul_f64 v[12:13], v[186:187], v[44:45]
	v_fmac_f64_e32 v[78:79], v[160:161], v[28:29]
	v_fma_f64 v[28:29], v[184:185], v[46:47], -v[12:13]
	s_waitcnt lgkmcnt(2)
	v_mul_f64 v[12:13], v[182:183], v[60:61]
	v_mul_f64 v[82:83], v[150:151], v[34:35]
	v_fma_f64 v[30:31], v[180:181], v[62:63], -v[12:13]
	s_waitcnt lgkmcnt(1)
	v_mul_f64 v[12:13], v[178:179], v[64:65]
	v_mul_f64 v[56:57], v[150:151], v[18:19]
	v_fmac_f64_e32 v[82:83], v[148:149], v[32:33]
	v_fma_f64 v[32:33], v[176:177], v[66:67], -v[12:13]
	s_waitcnt lgkmcnt(0)
	v_mul_f64 v[12:13], v[174:175], v[68:69]
	v_fmac_f64_e32 v[56:57], v[148:149], v[16:17]
	v_mul_f64 v[72:73], v[146:147], v[22:23]
	v_fma_f64 v[34:35], v[172:173], v[70:71], -v[12:13]
	v_add_f64 v[12:13], v[0:1], v[50:51]
	v_fmac_f64_e32 v[72:73], v[144:145], v[20:21]
	v_mul_f64 v[22:23], v[142:143], v[26:27]
	v_add_f64 v[12:13], v[12:13], v[56:57]
	v_fmac_f64_e32 v[22:23], v[140:141], v[24:25]
	v_add_f64 v[12:13], v[12:13], v[72:73]
	v_add_f64 v[16:17], v[12:13], v[22:23]
	;; [unrolled: 1-line block ×3, first 2 shown]
	v_fma_f64 v[12:13], -0.5, v[12:13], v[0:1]
	v_add_f64 v[14:15], v[54:55], -v[76:77]
	v_fma_f64 v[20:21], s[12:13], v[14:15], v[12:13]
	v_add_f64 v[18:19], v[58:59], -v[74:75]
	v_add_f64 v[24:25], v[50:51], -v[56:57]
	;; [unrolled: 1-line block ×3, first 2 shown]
	v_fmac_f64_e32 v[12:13], s[2:3], v[14:15]
	v_fmac_f64_e32 v[20:21], s[10:11], v[18:19]
	v_add_f64 v[24:25], v[24:25], v[26:27]
	v_fmac_f64_e32 v[12:13], s[8:9], v[18:19]
	v_fmac_f64_e32 v[20:21], s[4:5], v[24:25]
	;; [unrolled: 1-line block ×3, first 2 shown]
	v_add_f64 v[24:25], v[50:51], v[22:23]
	v_fmac_f64_e32 v[0:1], -0.5, v[24:25]
	v_fma_f64 v[24:25], s[2:3], v[18:19], v[0:1]
	v_fmac_f64_e32 v[0:1], s[12:13], v[18:19]
	v_fmac_f64_e32 v[24:25], s[10:11], v[14:15]
	;; [unrolled: 1-line block ×3, first 2 shown]
	v_add_f64 v[14:15], v[2:3], v[54:55]
	v_mul_f64 v[86:87], v[146:147], v[38:39]
	v_add_f64 v[14:15], v[14:15], v[58:59]
	v_fmac_f64_e32 v[86:87], v[144:145], v[36:37]
	v_mul_f64 v[36:37], v[186:187], v[46:47]
	v_add_f64 v[14:15], v[14:15], v[74:75]
	v_fmac_f64_e32 v[36:37], v[184:185], v[44:45]
	v_add_f64 v[26:27], v[56:57], -v[50:51]
	v_add_f64 v[44:45], v[72:73], -v[22:23]
	v_add_f64 v[18:19], v[14:15], v[76:77]
	v_add_f64 v[14:15], v[58:59], v[74:75]
	;; [unrolled: 1-line block ×3, first 2 shown]
	v_fma_f64 v[14:15], -0.5, v[14:15], v[2:3]
	v_add_f64 v[44:45], v[50:51], -v[22:23]
	v_fmac_f64_e32 v[24:25], s[4:5], v[26:27]
	v_fmac_f64_e32 v[0:1], s[4:5], v[26:27]
	v_fma_f64 v[22:23], s[2:3], v[44:45], v[14:15]
	v_add_f64 v[46:47], v[56:57], -v[72:73]
	v_add_f64 v[26:27], v[54:55], -v[58:59]
	;; [unrolled: 1-line block ×3, first 2 shown]
	v_fmac_f64_e32 v[14:15], s[12:13], v[44:45]
	v_fmac_f64_e32 v[22:23], s[8:9], v[46:47]
	v_add_f64 v[26:27], v[26:27], v[50:51]
	v_fmac_f64_e32 v[14:15], s[10:11], v[46:47]
	v_fmac_f64_e32 v[22:23], s[4:5], v[26:27]
	;; [unrolled: 1-line block ×3, first 2 shown]
	v_add_f64 v[26:27], v[54:55], v[76:77]
	v_fmac_f64_e32 v[2:3], -0.5, v[26:27]
	v_mul_f64 v[90:91], v[142:143], v[42:43]
	v_mul_f64 v[38:39], v[182:183], v[62:63]
	v_fma_f64 v[26:27], s[12:13], v[46:47], v[2:3]
	v_add_f64 v[50:51], v[58:59], -v[54:55]
	v_add_f64 v[54:55], v[74:75], -v[76:77]
	v_fmac_f64_e32 v[2:3], s[2:3], v[46:47]
	v_add_f64 v[46:47], v[82:83], v[86:87]
	v_fmac_f64_e32 v[90:91], v[140:141], v[40:41]
	v_fmac_f64_e32 v[38:39], v[180:181], v[60:61]
	v_mul_f64 v[40:41], v[178:179], v[66:67]
	v_fmac_f64_e32 v[26:27], s[8:9], v[44:45]
	v_add_f64 v[50:51], v[50:51], v[54:55]
	v_fmac_f64_e32 v[2:3], s[10:11], v[44:45]
	v_fma_f64 v[60:61], -0.5, v[46:47], v[4:5]
	v_add_f64 v[46:47], v[80:81], -v[92:93]
	v_fmac_f64_e32 v[40:41], v[176:177], v[64:65]
	v_fmac_f64_e32 v[26:27], s[4:5], v[50:51]
	v_fmac_f64_e32 v[2:3], s[4:5], v[50:51]
	v_fma_f64 v[64:65], s[12:13], v[46:47], v[60:61]
	v_add_f64 v[50:51], v[84:85], -v[88:89]
	v_add_f64 v[54:55], v[78:79], -v[82:83]
	;; [unrolled: 1-line block ×3, first 2 shown]
	v_fmac_f64_e32 v[60:61], s[2:3], v[46:47]
	v_fmac_f64_e32 v[64:65], s[10:11], v[50:51]
	v_add_f64 v[54:55], v[54:55], v[56:57]
	v_fmac_f64_e32 v[60:61], s[8:9], v[50:51]
	v_fmac_f64_e32 v[64:65], s[4:5], v[54:55]
	;; [unrolled: 1-line block ×3, first 2 shown]
	v_add_f64 v[54:55], v[78:79], v[90:91]
	v_mul_f64 v[42:43], v[174:175], v[70:71]
	v_add_f64 v[44:45], v[4:5], v[78:79]
	v_fmac_f64_e32 v[4:5], -0.5, v[54:55]
	v_fmac_f64_e32 v[42:43], v[172:173], v[68:69]
	v_fma_f64 v[68:69], s[2:3], v[50:51], v[4:5]
	v_add_f64 v[54:55], v[82:83], -v[78:79]
	v_add_f64 v[56:57], v[86:87], -v[90:91]
	v_fmac_f64_e32 v[4:5], s[12:13], v[50:51]
	v_add_f64 v[50:51], v[84:85], v[88:89]
	v_fmac_f64_e32 v[68:69], s[10:11], v[46:47]
	v_add_f64 v[54:55], v[54:55], v[56:57]
	v_fmac_f64_e32 v[4:5], s[8:9], v[46:47]
	v_fma_f64 v[62:63], -0.5, v[50:51], v[6:7]
	v_add_f64 v[50:51], v[78:79], -v[90:91]
	v_fmac_f64_e32 v[68:69], s[4:5], v[54:55]
	v_fmac_f64_e32 v[4:5], s[4:5], v[54:55]
	v_fma_f64 v[66:67], s[2:3], v[50:51], v[62:63]
	v_add_f64 v[54:55], v[82:83], -v[86:87]
	v_add_f64 v[56:57], v[80:81], -v[84:85]
	;; [unrolled: 1-line block ×3, first 2 shown]
	v_fmac_f64_e32 v[62:63], s[12:13], v[50:51]
	v_fmac_f64_e32 v[66:67], s[8:9], v[54:55]
	v_add_f64 v[56:57], v[56:57], v[58:59]
	v_fmac_f64_e32 v[62:63], s[10:11], v[54:55]
	v_fmac_f64_e32 v[66:67], s[4:5], v[56:57]
	;; [unrolled: 1-line block ×3, first 2 shown]
	v_add_f64 v[56:57], v[80:81], v[92:93]
	v_add_f64 v[46:47], v[6:7], v[80:81]
	v_fmac_f64_e32 v[6:7], -0.5, v[56:57]
	v_fma_f64 v[70:71], s[12:13], v[54:55], v[6:7]
	v_fmac_f64_e32 v[6:7], s[2:3], v[54:55]
	v_fmac_f64_e32 v[70:71], s[8:9], v[50:51]
	;; [unrolled: 1-line block ×3, first 2 shown]
	v_add_f64 v[50:51], v[8:9], v[36:37]
	v_add_f64 v[50:51], v[50:51], v[38:39]
	;; [unrolled: 1-line block ×3, first 2 shown]
	v_add_f64 v[56:57], v[84:85], -v[80:81]
	v_add_f64 v[58:59], v[88:89], -v[92:93]
	v_add_f64 v[72:73], v[50:51], v[42:43]
	v_add_f64 v[50:51], v[38:39], v[40:41]
	;; [unrolled: 1-line block ×3, first 2 shown]
	v_fma_f64 v[76:77], -0.5, v[50:51], v[8:9]
	v_add_f64 v[50:51], v[28:29], -v[34:35]
	v_fmac_f64_e32 v[70:71], s[4:5], v[56:57]
	v_fmac_f64_e32 v[6:7], s[4:5], v[56:57]
	v_fma_f64 v[80:81], s[12:13], v[50:51], v[76:77]
	v_add_f64 v[54:55], v[30:31], -v[32:33]
	v_add_f64 v[56:57], v[36:37], -v[38:39]
	v_add_f64 v[58:59], v[42:43], -v[40:41]
	v_fmac_f64_e32 v[76:77], s[2:3], v[50:51]
	v_fmac_f64_e32 v[80:81], s[10:11], v[54:55]
	v_add_f64 v[56:57], v[56:57], v[58:59]
	v_fmac_f64_e32 v[76:77], s[8:9], v[54:55]
	v_fmac_f64_e32 v[80:81], s[4:5], v[56:57]
	;; [unrolled: 1-line block ×3, first 2 shown]
	v_add_f64 v[56:57], v[36:37], v[42:43]
	v_fmac_f64_e32 v[8:9], -0.5, v[56:57]
	v_add_f64 v[46:47], v[46:47], v[84:85]
	v_fma_f64 v[84:85], s[2:3], v[54:55], v[8:9]
	v_fmac_f64_e32 v[8:9], s[12:13], v[54:55]
	v_fmac_f64_e32 v[84:85], s[10:11], v[50:51]
	v_fmac_f64_e32 v[8:9], s[8:9], v[50:51]
	v_add_f64 v[50:51], v[10:11], v[28:29]
	v_add_f64 v[50:51], v[50:51], v[30:31]
	;; [unrolled: 1-line block ×5, first 2 shown]
	v_add_f64 v[56:57], v[38:39], -v[36:37]
	v_fma_f64 v[78:79], -0.5, v[50:51], v[10:11]
	v_add_f64 v[36:37], v[36:37], -v[42:43]
	v_add_f64 v[44:45], v[44:45], v[82:83]
	v_add_f64 v[58:59], v[40:41], -v[42:43]
	v_fma_f64 v[82:83], s[2:3], v[36:37], v[78:79]
	v_add_f64 v[38:39], v[38:39], -v[40:41]
	v_add_f64 v[40:41], v[28:29], -v[30:31]
	v_add_f64 v[42:43], v[34:35], -v[32:33]
	v_fmac_f64_e32 v[78:79], s[12:13], v[36:37]
	v_fmac_f64_e32 v[82:83], s[8:9], v[38:39]
	v_add_f64 v[40:41], v[40:41], v[42:43]
	v_fmac_f64_e32 v[78:79], s[10:11], v[38:39]
	v_fmac_f64_e32 v[82:83], s[4:5], v[40:41]
	;; [unrolled: 1-line block ×3, first 2 shown]
	v_add_f64 v[40:41], v[28:29], v[34:35]
	v_fmac_f64_e32 v[10:11], -0.5, v[40:41]
	v_add_f64 v[44:45], v[44:45], v[86:87]
	v_fma_f64 v[86:87], s[12:13], v[38:39], v[10:11]
	v_add_f64 v[28:29], v[30:31], -v[28:29]
	v_add_f64 v[30:31], v[32:33], -v[34:35]
	v_fmac_f64_e32 v[10:11], s[2:3], v[38:39]
	v_add_f64 v[46:47], v[46:47], v[88:89]
	v_add_f64 v[56:57], v[56:57], v[58:59]
	v_add_f64 v[28:29], v[28:29], v[30:31]
	v_fmac_f64_e32 v[10:11], s[10:11], v[36:37]
	v_add_f64 v[44:45], v[44:45], v[90:91]
	v_add_f64 v[46:47], v[46:47], v[92:93]
	v_fmac_f64_e32 v[8:9], s[4:5], v[56:57]
	v_fmac_f64_e32 v[86:87], s[8:9], v[36:37]
	;; [unrolled: 1-line block ×5, first 2 shown]
	s_barrier
	ds_write_b128 v48, v[16:19]
	ds_write_b128 v48, v[20:23] offset:2000
	ds_write_b128 v48, v[24:27] offset:4000
	;; [unrolled: 1-line block ×14, first 2 shown]
	s_waitcnt lgkmcnt(0)
	s_barrier
	ds_read_b128 v[0:3], v48
	ds_read_b128 v[20:23], v48 offset:10000
	ds_read_b128 v[24:27], v48 offset:20000
	;; [unrolled: 1-line block ×14, first 2 shown]
	s_waitcnt lgkmcnt(13)
	v_mul_f64 v[50:51], v[190:191], v[22:23]
	v_fmac_f64_e32 v[50:51], v[188:189], v[20:21]
	v_mul_f64 v[20:21], v[190:191], v[20:21]
	v_fma_f64 v[54:55], v[188:189], v[22:23], -v[20:21]
	s_waitcnt lgkmcnt(12)
	v_mul_f64 v[20:21], v[194:195], v[24:25]
	v_mul_f64 v[56:57], v[194:195], v[26:27]
	v_fma_f64 v[26:27], v[192:193], v[26:27], -v[20:21]
	s_waitcnt lgkmcnt(10)
	v_mul_f64 v[20:21], v[202:203], v[28:29]
	v_fma_f64 v[72:73], v[200:201], v[30:31], -v[20:21]
	s_waitcnt lgkmcnt(9)
	v_mul_f64 v[20:21], v[198:199], v[32:33]
	v_mul_f64 v[74:75], v[198:199], v[34:35]
	v_fma_f64 v[34:35], v[196:197], v[34:35], -v[20:21]
	s_waitcnt lgkmcnt(7)
	;; [unrolled: 7-line block ×3, first 2 shown]
	v_mul_f64 v[20:21], v[218:219], v[44:45]
	v_fma_f64 v[84:85], v[216:217], v[46:47], -v[20:21]
	s_waitcnt lgkmcnt(3)
	v_mul_f64 v[20:21], v[214:215], v[60:61]
	v_fmac_f64_e32 v[56:57], v[192:193], v[24:25]
	v_mul_f64 v[86:87], v[214:215], v[62:63]
	v_fma_f64 v[62:63], v[212:213], v[62:63], -v[20:21]
	s_waitcnt lgkmcnt(1)
	v_mul_f64 v[20:21], v[226:227], v[64:65]
	v_fma_f64 v[90:91], v[224:225], v[66:67], -v[20:21]
	s_waitcnt lgkmcnt(0)
	v_mul_f64 v[20:21], v[222:223], v[68:69]
	v_add_f64 v[22:23], v[50:51], v[56:57]
	v_mul_f64 v[92:93], v[222:223], v[70:71]
	v_fma_f64 v[70:71], v[220:221], v[70:71], -v[20:21]
	v_add_f64 v[20:21], v[0:1], v[50:51]
	v_fmac_f64_e32 v[0:1], -0.5, v[22:23]
	v_add_f64 v[22:23], v[54:55], -v[26:27]
	v_mul_f64 v[58:59], v[202:203], v[30:31]
	v_fma_f64 v[24:25], s[6:7], v[22:23], v[0:1]
	v_fmac_f64_e32 v[0:1], s[14:15], v[22:23]
	v_add_f64 v[22:23], v[2:3], v[54:55]
	v_fmac_f64_e32 v[58:59], v[200:201], v[28:29]
	v_fmac_f64_e32 v[74:75], v[196:197], v[32:33]
	v_add_f64 v[22:23], v[22:23], v[26:27]
	v_add_f64 v[26:27], v[54:55], v[26:27]
	v_fmac_f64_e32 v[2:3], -0.5, v[26:27]
	v_add_f64 v[28:29], v[50:51], -v[56:57]
	v_add_f64 v[30:31], v[58:59], v[74:75]
	v_fma_f64 v[26:27], s[14:15], v[28:29], v[2:3]
	v_fmac_f64_e32 v[2:3], s[6:7], v[28:29]
	v_add_f64 v[28:29], v[4:5], v[58:59]
	v_fmac_f64_e32 v[4:5], -0.5, v[30:31]
	v_add_f64 v[30:31], v[72:73], -v[34:35]
	v_mul_f64 v[76:77], v[210:211], v[38:39]
	v_fma_f64 v[32:33], s[6:7], v[30:31], v[4:5]
	v_fmac_f64_e32 v[4:5], s[14:15], v[30:31]
	v_add_f64 v[30:31], v[6:7], v[72:73]
	v_fmac_f64_e32 v[76:77], v[208:209], v[36:37]
	v_fmac_f64_e32 v[80:81], v[204:205], v[40:41]
	v_add_f64 v[30:31], v[30:31], v[34:35]
	v_add_f64 v[34:35], v[72:73], v[34:35]
	v_fmac_f64_e32 v[6:7], -0.5, v[34:35]
	v_add_f64 v[36:37], v[58:59], -v[74:75]
	v_add_f64 v[38:39], v[76:77], v[80:81]
	v_fma_f64 v[34:35], s[14:15], v[36:37], v[6:7]
	v_fmac_f64_e32 v[6:7], s[6:7], v[36:37]
	v_add_f64 v[36:37], v[8:9], v[76:77]
	v_fmac_f64_e32 v[8:9], -0.5, v[38:39]
	v_add_f64 v[38:39], v[78:79], -v[42:43]
	v_mul_f64 v[82:83], v[218:219], v[46:47]
	v_fma_f64 v[40:41], s[6:7], v[38:39], v[8:9]
	v_fmac_f64_e32 v[8:9], s[14:15], v[38:39]
	v_add_f64 v[38:39], v[10:11], v[78:79]
	v_fmac_f64_e32 v[82:83], v[216:217], v[44:45]
	v_fmac_f64_e32 v[86:87], v[212:213], v[60:61]
	v_add_f64 v[38:39], v[38:39], v[42:43]
	v_add_f64 v[42:43], v[78:79], v[42:43]
	v_fmac_f64_e32 v[10:11], -0.5, v[42:43]
	v_add_f64 v[44:45], v[76:77], -v[80:81]
	v_add_f64 v[46:47], v[82:83], v[86:87]
	v_mul_f64 v[88:89], v[226:227], v[66:67]
	v_fma_f64 v[42:43], s[14:15], v[44:45], v[10:11]
	v_fmac_f64_e32 v[10:11], s[6:7], v[44:45]
	v_add_f64 v[44:45], v[12:13], v[82:83]
	v_fmac_f64_e32 v[12:13], -0.5, v[46:47]
	v_add_f64 v[46:47], v[84:85], -v[62:63]
	v_add_f64 v[50:51], v[84:85], v[62:63]
	v_fmac_f64_e32 v[88:89], v[224:225], v[64:65]
	v_fma_f64 v[60:61], s[6:7], v[46:47], v[12:13]
	v_fmac_f64_e32 v[12:13], s[14:15], v[46:47]
	v_add_f64 v[46:47], v[14:15], v[84:85]
	v_fmac_f64_e32 v[14:15], -0.5, v[50:51]
	v_add_f64 v[50:51], v[82:83], -v[86:87]
	v_fmac_f64_e32 v[92:93], v[220:221], v[68:69]
	v_add_f64 v[46:47], v[46:47], v[62:63]
	v_fma_f64 v[62:63], s[14:15], v[50:51], v[14:15]
	v_fmac_f64_e32 v[14:15], s[6:7], v[50:51]
	v_add_f64 v[50:51], v[16:17], v[88:89]
	v_add_f64 v[64:65], v[50:51], v[92:93]
	;; [unrolled: 1-line block ×3, first 2 shown]
	v_fmac_f64_e32 v[16:17], -0.5, v[50:51]
	v_add_f64 v[50:51], v[90:91], -v[70:71]
	v_fma_f64 v[68:69], s[6:7], v[50:51], v[16:17]
	v_fmac_f64_e32 v[16:17], s[14:15], v[50:51]
	v_add_f64 v[50:51], v[18:19], v[90:91]
	v_add_f64 v[66:67], v[50:51], v[70:71]
	;; [unrolled: 1-line block ×4, first 2 shown]
	v_fmac_f64_e32 v[18:19], -0.5, v[50:51]
	v_add_f64 v[50:51], v[88:89], -v[92:93]
	v_add_f64 v[28:29], v[28:29], v[74:75]
	v_add_f64 v[36:37], v[36:37], v[80:81]
	;; [unrolled: 1-line block ×3, first 2 shown]
	v_fma_f64 v[70:71], s[14:15], v[50:51], v[18:19]
	v_fmac_f64_e32 v[18:19], s[6:7], v[50:51]
	ds_write_b128 v48, v[20:23]
	ds_write_b128 v48, v[24:27] offset:10000
	ds_write_b128 v48, v[0:3] offset:20000
	;; [unrolled: 1-line block ×14, first 2 shown]
	s_waitcnt lgkmcnt(0)
	s_barrier
	ds_read_b128 v[0:3], v48
	v_accvgpr_read_b32 v6, a28
	v_accvgpr_read_b32 v8, a30
	;; [unrolled: 1-line block ×4, first 2 shown]
	s_waitcnt lgkmcnt(0)
	v_mul_f64 v[4:5], v[8:9], v[2:3]
	v_fmac_f64_e32 v[4:5], v[6:7], v[0:1]
	s_mov_b32 s2, 0x9cbd821e
	v_mul_f64 v[0:1], v[8:9], v[0:1]
	s_mov_b32 s3, 0x3f4179ec
	v_fma_f64 v[0:1], v[6:7], v[2:3], -v[0:1]
	v_mul_f64 v[6:7], v[0:1], s[2:3]
	v_mad_u64_u32 v[0:1], s[4:5], s0, v52, 0
	v_mov_b32_e32 v2, v1
	v_mad_u64_u32 v[2:3], s[4:5], s1, v52, v[2:3]
	v_mov_b32_e32 v1, v2
	v_accvgpr_read_b32 v2, a4
	v_accvgpr_read_b32 v8, a10
	;; [unrolled: 1-line block ×4, first 2 shown]
	v_lshl_add_u64 v[2:3], v[8:9], 4, v[2:3]
	v_lshl_add_u64 v[8:9], v[0:1], 4, v[2:3]
	ds_read_b128 v[0:3], v48 offset:6000
	v_accvgpr_read_b32 v10, a36
	v_mul_f64 v[4:5], v[4:5], s[2:3]
	v_accvgpr_read_b32 v12, a38
	v_accvgpr_read_b32 v13, a39
	global_store_dwordx4 v[8:9], v[4:7], off
	v_accvgpr_read_b32 v11, a37
	v_mad_u64_u32 v[8:9], s[4:5], s0, v49, v[8:9]
	s_waitcnt lgkmcnt(0)
	v_mul_f64 v[4:5], v[12:13], v[2:3]
	v_fmac_f64_e32 v[4:5], v[10:11], v[0:1]
	v_mul_f64 v[0:1], v[12:13], v[0:1]
	v_fma_f64 v[0:1], v[10:11], v[2:3], -v[0:1]
	v_mul_f64 v[6:7], v[0:1], s[2:3]
	ds_read_b128 v[0:3], v48 offset:12000
	s_mul_i32 s4, s1, 0x1770
	v_accvgpr_read_b32 v10, a48
	v_mul_f64 v[4:5], v[4:5], s[2:3]
	v_add_u32_e32 v9, s4, v9
	v_accvgpr_read_b32 v12, a50
	v_accvgpr_read_b32 v13, a51
	global_store_dwordx4 v[8:9], v[4:7], off
	v_accvgpr_read_b32 v11, a49
	v_mad_u64_u32 v[8:9], s[6:7], s0, v49, v[8:9]
	s_waitcnt lgkmcnt(0)
	v_mul_f64 v[4:5], v[12:13], v[2:3]
	v_fmac_f64_e32 v[4:5], v[10:11], v[0:1]
	v_mul_f64 v[0:1], v[12:13], v[0:1]
	v_fma_f64 v[0:1], v[10:11], v[2:3], -v[0:1]
	v_mul_f64 v[6:7], v[0:1], s[2:3]
	ds_read_b128 v[0:3], v48 offset:18000
	v_accvgpr_read_b32 v10, a56
	v_mul_f64 v[4:5], v[4:5], s[2:3]
	v_add_u32_e32 v9, s4, v9
	v_accvgpr_read_b32 v12, a58
	v_accvgpr_read_b32 v13, a59
	global_store_dwordx4 v[8:9], v[4:7], off
	v_accvgpr_read_b32 v11, a57
	v_mad_u64_u32 v[8:9], s[6:7], s0, v49, v[8:9]
	s_waitcnt lgkmcnt(0)
	v_mul_f64 v[4:5], v[12:13], v[2:3]
	v_fmac_f64_e32 v[4:5], v[10:11], v[0:1]
	v_mul_f64 v[0:1], v[12:13], v[0:1]
	v_fma_f64 v[0:1], v[10:11], v[2:3], -v[0:1]
	v_mul_f64 v[6:7], v[0:1], s[2:3]
	ds_read_b128 v[0:3], v48 offset:24000
	;; [unrolled: 15-line block ×3, first 2 shown]
	v_accvgpr_read_b32 v10, a20
	v_mul_f64 v[4:5], v[4:5], s[2:3]
	v_add_u32_e32 v9, s4, v9
	v_accvgpr_read_b32 v12, a22
	v_accvgpr_read_b32 v13, a23
	global_store_dwordx4 v[8:9], v[4:7], off
	v_accvgpr_read_b32 v11, a21
	s_mulk_i32 s1, 0xaa10
	s_waitcnt lgkmcnt(0)
	v_mul_f64 v[4:5], v[12:13], v[2:3]
	v_fmac_f64_e32 v[4:5], v[10:11], v[0:1]
	v_mul_f64 v[0:1], v[12:13], v[0:1]
	v_fma_f64 v[0:1], v[10:11], v[2:3], -v[0:1]
	v_mul_f64 v[6:7], v[0:1], s[2:3]
	ds_read_b128 v[0:3], v48 offset:8000
	v_mov_b32_e32 v10, 0xffffaa10
	v_mad_u64_u32 v[8:9], s[6:7], s0, v10, v[8:9]
	s_sub_i32 s1, s1, s0
	v_accvgpr_read_b32 v12, a32
	v_mul_f64 v[4:5], v[4:5], s[2:3]
	v_add_u32_e32 v9, s1, v9
	v_accvgpr_read_b32 v14, a34
	v_accvgpr_read_b32 v15, a35
	global_store_dwordx4 v[8:9], v[4:7], off
	v_accvgpr_read_b32 v13, a33
	v_mad_u64_u32 v[8:9], s[6:7], s0, v49, v[8:9]
	s_waitcnt lgkmcnt(0)
	v_mul_f64 v[4:5], v[14:15], v[2:3]
	v_fmac_f64_e32 v[4:5], v[12:13], v[0:1]
	v_mul_f64 v[0:1], v[14:15], v[0:1]
	v_fma_f64 v[0:1], v[12:13], v[2:3], -v[0:1]
	v_mul_f64 v[6:7], v[0:1], s[2:3]
	ds_read_b128 v[0:3], v48 offset:14000
	v_accvgpr_read_b32 v12, a40
	v_mul_f64 v[4:5], v[4:5], s[2:3]
	v_add_u32_e32 v9, s4, v9
	v_accvgpr_read_b32 v14, a42
	v_accvgpr_read_b32 v15, a43
	global_store_dwordx4 v[8:9], v[4:7], off
	v_accvgpr_read_b32 v13, a41
	v_mad_u64_u32 v[8:9], s[6:7], s0, v49, v[8:9]
	s_waitcnt lgkmcnt(0)
	v_mul_f64 v[4:5], v[14:15], v[2:3]
	v_fmac_f64_e32 v[4:5], v[12:13], v[0:1]
	v_mul_f64 v[0:1], v[14:15], v[0:1]
	v_fma_f64 v[0:1], v[12:13], v[2:3], -v[0:1]
	v_mul_f64 v[6:7], v[0:1], s[2:3]
	ds_read_b128 v[0:3], v48 offset:20000
	;; [unrolled: 15-line block ×6, first 2 shown]
	v_accvgpr_read_b32 v13, a9
	v_mul_f64 v[4:5], v[4:5], s[2:3]
	v_add_u32_e32 v9, s4, v9
	v_accvgpr_read_b32 v12, a8
	global_store_dwordx4 v[8:9], v[4:7], off
	v_accvgpr_read_b32 v11, a7
	v_accvgpr_read_b32 v10, a6
	s_waitcnt lgkmcnt(0)
	v_mul_f64 v[4:5], v[12:13], v[2:3]
	v_fmac_f64_e32 v[4:5], v[10:11], v[0:1]
	v_mul_f64 v[0:1], v[12:13], v[0:1]
	v_fma_f64 v[0:1], v[10:11], v[2:3], -v[0:1]
	v_mul_f64 v[6:7], v[0:1], s[2:3]
	ds_read_b128 v[0:3], v48 offset:22000
	v_mad_u64_u32 v[8:9], s[6:7], s0, v49, v[8:9]
	v_accvgpr_read_b32 v13, a3
	v_mul_f64 v[4:5], v[4:5], s[2:3]
	v_add_u32_e32 v9, s4, v9
	v_accvgpr_read_b32 v12, a2
	global_store_dwordx4 v[8:9], v[4:7], off
	v_accvgpr_read_b32 v11, a1
	v_accvgpr_read_b32 v10, a0
	s_waitcnt lgkmcnt(0)
	v_mul_f64 v[4:5], v[12:13], v[2:3]
	v_fmac_f64_e32 v[4:5], v[10:11], v[0:1]
	v_mul_f64 v[0:1], v[12:13], v[0:1]
	v_fma_f64 v[0:1], v[10:11], v[2:3], -v[0:1]
	v_mul_f64 v[6:7], v[0:1], s[2:3]
	ds_read_b128 v[0:3], v48 offset:28000
	v_mad_u64_u32 v[8:9], s[6:7], s0, v49, v[8:9]
	v_accvgpr_read_b32 v10, a12
	v_mul_f64 v[4:5], v[4:5], s[2:3]
	v_add_u32_e32 v9, s4, v9
	v_accvgpr_read_b32 v12, a14
	v_accvgpr_read_b32 v13, a15
	global_store_dwordx4 v[8:9], v[4:7], off
	v_accvgpr_read_b32 v11, a13
	s_waitcnt lgkmcnt(0)
	v_mul_f64 v[4:5], v[12:13], v[2:3]
	v_fmac_f64_e32 v[4:5], v[10:11], v[0:1]
	v_mul_f64 v[0:1], v[12:13], v[0:1]
	v_fma_f64 v[0:1], v[10:11], v[2:3], -v[0:1]
	v_mul_f64 v[6:7], v[0:1], s[2:3]
	v_mad_u64_u32 v[0:1], s[0:1], s0, v49, v[8:9]
	v_mul_f64 v[4:5], v[4:5], s[2:3]
	v_add_u32_e32 v1, s4, v1
	global_store_dwordx4 v[0:1], v[4:7], off
.LBB0_2:
	s_endpgm
	.section	.rodata,"a",@progbits
	.p2align	6, 0x0
	.amdhsa_kernel bluestein_single_back_len1875_dim1_dp_op_CI_CI
		.amdhsa_group_segment_fixed_size 60000
		.amdhsa_private_segment_fixed_size 0
		.amdhsa_kernarg_size 104
		.amdhsa_user_sgpr_count 2
		.amdhsa_user_sgpr_dispatch_ptr 0
		.amdhsa_user_sgpr_queue_ptr 0
		.amdhsa_user_sgpr_kernarg_segment_ptr 1
		.amdhsa_user_sgpr_dispatch_id 0
		.amdhsa_user_sgpr_kernarg_preload_length 0
		.amdhsa_user_sgpr_kernarg_preload_offset 0
		.amdhsa_user_sgpr_private_segment_size 0
		.amdhsa_uses_dynamic_stack 0
		.amdhsa_enable_private_segment 0
		.amdhsa_system_sgpr_workgroup_id_x 1
		.amdhsa_system_sgpr_workgroup_id_y 0
		.amdhsa_system_sgpr_workgroup_id_z 0
		.amdhsa_system_sgpr_workgroup_info 0
		.amdhsa_system_vgpr_workitem_id 0
		.amdhsa_next_free_vgpr 339
		.amdhsa_next_free_sgpr 18
		.amdhsa_accum_offset 256
		.amdhsa_reserve_vcc 1
		.amdhsa_float_round_mode_32 0
		.amdhsa_float_round_mode_16_64 0
		.amdhsa_float_denorm_mode_32 3
		.amdhsa_float_denorm_mode_16_64 3
		.amdhsa_dx10_clamp 1
		.amdhsa_ieee_mode 1
		.amdhsa_fp16_overflow 0
		.amdhsa_tg_split 0
		.amdhsa_exception_fp_ieee_invalid_op 0
		.amdhsa_exception_fp_denorm_src 0
		.amdhsa_exception_fp_ieee_div_zero 0
		.amdhsa_exception_fp_ieee_overflow 0
		.amdhsa_exception_fp_ieee_underflow 0
		.amdhsa_exception_fp_ieee_inexact 0
		.amdhsa_exception_int_div_zero 0
	.end_amdhsa_kernel
	.text
.Lfunc_end0:
	.size	bluestein_single_back_len1875_dim1_dp_op_CI_CI, .Lfunc_end0-bluestein_single_back_len1875_dim1_dp_op_CI_CI
                                        ; -- End function
	.section	.AMDGPU.csdata,"",@progbits
; Kernel info:
; codeLenInByte = 21232
; NumSgprs: 24
; NumVgprs: 256
; NumAgprs: 83
; TotalNumVgprs: 339
; ScratchSize: 0
; MemoryBound: 0
; FloatMode: 240
; IeeeMode: 1
; LDSByteSize: 60000 bytes/workgroup (compile time only)
; SGPRBlocks: 2
; VGPRBlocks: 42
; NumSGPRsForWavesPerEU: 24
; NumVGPRsForWavesPerEU: 339
; AccumOffset: 256
; Occupancy: 1
; WaveLimiterHint : 1
; COMPUTE_PGM_RSRC2:SCRATCH_EN: 0
; COMPUTE_PGM_RSRC2:USER_SGPR: 2
; COMPUTE_PGM_RSRC2:TRAP_HANDLER: 0
; COMPUTE_PGM_RSRC2:TGID_X_EN: 1
; COMPUTE_PGM_RSRC2:TGID_Y_EN: 0
; COMPUTE_PGM_RSRC2:TGID_Z_EN: 0
; COMPUTE_PGM_RSRC2:TIDIG_COMP_CNT: 0
; COMPUTE_PGM_RSRC3_GFX90A:ACCUM_OFFSET: 63
; COMPUTE_PGM_RSRC3_GFX90A:TG_SPLIT: 0
	.text
	.p2alignl 6, 3212836864
	.fill 256, 4, 3212836864
	.type	__hip_cuid_7d561338e6c33dc3,@object ; @__hip_cuid_7d561338e6c33dc3
	.section	.bss,"aw",@nobits
	.globl	__hip_cuid_7d561338e6c33dc3
__hip_cuid_7d561338e6c33dc3:
	.byte	0                               ; 0x0
	.size	__hip_cuid_7d561338e6c33dc3, 1

	.ident	"AMD clang version 19.0.0git (https://github.com/RadeonOpenCompute/llvm-project roc-6.4.0 25133 c7fe45cf4b819c5991fe208aaa96edf142730f1d)"
	.section	".note.GNU-stack","",@progbits
	.addrsig
	.addrsig_sym __hip_cuid_7d561338e6c33dc3
	.amdgpu_metadata
---
amdhsa.kernels:
  - .agpr_count:     83
    .args:
      - .actual_access:  read_only
        .address_space:  global
        .offset:         0
        .size:           8
        .value_kind:     global_buffer
      - .actual_access:  read_only
        .address_space:  global
        .offset:         8
        .size:           8
        .value_kind:     global_buffer
      - .actual_access:  read_only
        .address_space:  global
        .offset:         16
        .size:           8
        .value_kind:     global_buffer
      - .actual_access:  read_only
        .address_space:  global
        .offset:         24
        .size:           8
        .value_kind:     global_buffer
      - .actual_access:  read_only
        .address_space:  global
        .offset:         32
        .size:           8
        .value_kind:     global_buffer
      - .offset:         40
        .size:           8
        .value_kind:     by_value
      - .address_space:  global
        .offset:         48
        .size:           8
        .value_kind:     global_buffer
      - .address_space:  global
        .offset:         56
        .size:           8
        .value_kind:     global_buffer
      - .address_space:  global
        .offset:         64
        .size:           8
        .value_kind:     global_buffer
      - .address_space:  global
        .offset:         72
        .size:           8
        .value_kind:     global_buffer
      - .offset:         80
        .size:           4
        .value_kind:     by_value
      - .address_space:  global
        .offset:         88
        .size:           8
        .value_kind:     global_buffer
      - .address_space:  global
        .offset:         96
        .size:           8
        .value_kind:     global_buffer
    .group_segment_fixed_size: 60000
    .kernarg_segment_align: 8
    .kernarg_segment_size: 104
    .language:       OpenCL C
    .language_version:
      - 2
      - 0
    .max_flat_workgroup_size: 250
    .name:           bluestein_single_back_len1875_dim1_dp_op_CI_CI
    .private_segment_fixed_size: 0
    .sgpr_count:     24
    .sgpr_spill_count: 0
    .symbol:         bluestein_single_back_len1875_dim1_dp_op_CI_CI.kd
    .uniform_work_group_size: 1
    .uses_dynamic_stack: false
    .vgpr_count:     339
    .vgpr_spill_count: 0
    .wavefront_size: 64
amdhsa.target:   amdgcn-amd-amdhsa--gfx950
amdhsa.version:
  - 1
  - 2
...

	.end_amdgpu_metadata
